;; amdgpu-corpus repo=ROCm/rocFFT kind=compiled arch=gfx906 opt=O3
	.text
	.amdgcn_target "amdgcn-amd-amdhsa--gfx906"
	.amdhsa_code_object_version 6
	.protected	bluestein_single_back_len1716_dim1_half_op_CI_CI ; -- Begin function bluestein_single_back_len1716_dim1_half_op_CI_CI
	.globl	bluestein_single_back_len1716_dim1_half_op_CI_CI
	.p2align	8
	.type	bluestein_single_back_len1716_dim1_half_op_CI_CI,@function
bluestein_single_back_len1716_dim1_half_op_CI_CI: ; @bluestein_single_back_len1716_dim1_half_op_CI_CI
; %bb.0:
	s_load_dwordx4 s[0:3], s[4:5], 0x28
	v_mul_u32_u24_e32 v1, 0x1a5, v0
	v_add_u32_sdwa v16, s6, v1 dst_sel:DWORD dst_unused:UNUSED_PAD src0_sel:DWORD src1_sel:WORD_1
	v_mov_b32_e32 v17, 0
	s_waitcnt lgkmcnt(0)
	v_cmp_gt_u64_e32 vcc, s[0:1], v[16:17]
	s_and_saveexec_b64 s[0:1], vcc
	s_cbranch_execz .LBB0_31
; %bb.1:
	s_load_dwordx2 s[6:7], s[4:5], 0x0
	s_load_dwordx2 s[12:13], s[4:5], 0x38
	s_movk_i32 s0, 0x9c
	v_mul_lo_u16_sdwa v1, v1, s0 dst_sel:DWORD dst_unused:UNUSED_PAD src0_sel:WORD_1 src1_sel:DWORD
	v_sub_u16_e32 v32, v0, v1
	s_movk_i32 s0, 0x84
	v_cmp_gt_u16_e64 s[0:1], s0, v32
	v_lshlrev_b32_e32 v31, 2, v32
	s_and_saveexec_b64 s[14:15], s[0:1]
	s_cbranch_execz .LBB0_3
; %bb.2:
	s_load_dwordx2 s[8:9], s[4:5], 0x18
	s_waitcnt lgkmcnt(0)
	s_load_dwordx4 s[8:11], s[8:9], 0x0
	s_waitcnt lgkmcnt(0)
	v_mad_u64_u32 v[0:1], s[16:17], s10, v16, 0
	v_mad_u64_u32 v[2:3], s[16:17], s8, v32, 0
	;; [unrolled: 1-line block ×4, first 2 shown]
	v_mov_b32_e32 v1, v4
	v_lshlrev_b64 v[0:1], 2, v[0:1]
	v_mov_b32_e32 v3, v5
	v_mov_b32_e32 v6, s3
	v_lshlrev_b64 v[2:3], 2, v[2:3]
	v_add_co_u32_e32 v0, vcc, s2, v0
	v_addc_co_u32_e32 v1, vcc, v6, v1, vcc
	v_add_co_u32_e32 v0, vcc, v0, v2
	v_addc_co_u32_e32 v1, vcc, v1, v3, vcc
	global_load_dword v4, v[0:1], off
	global_load_dword v5, v31, s[6:7]
	v_mov_b32_e32 v2, s7
	v_add_co_u32_e32 v3, vcc, s6, v31
	s_mul_i32 s3, s9, 0x210
	s_mul_hi_u32 s9, s8, 0x210
	v_addc_co_u32_e32 v13, vcc, 0, v2, vcc
	s_mulk_i32 s8, 0x210
	s_add_i32 s3, s9, s3
	v_mov_b32_e32 v2, s3
	v_add_co_u32_e32 v0, vcc, s8, v0
	v_addc_co_u32_e32 v1, vcc, v1, v2, vcc
	global_load_dword v6, v31, s[6:7] offset:528
	global_load_dword v7, v31, s[6:7] offset:1056
	;; [unrolled: 1-line block ×7, first 2 shown]
	global_load_dword v17, v[0:1], off
	v_mov_b32_e32 v14, s3
	v_add_co_u32_e32 v0, vcc, s8, v0
	v_addc_co_u32_e32 v1, vcc, v1, v14, vcc
	global_load_dword v14, v[0:1], off
	v_mov_b32_e32 v15, s3
	v_add_co_u32_e32 v0, vcc, s8, v0
	s_movk_i32 s2, 0x1000
	v_addc_co_u32_e32 v1, vcc, v1, v15, vcc
	global_load_dword v15, v[0:1], off
	v_add_co_u32_e32 v2, vcc, s2, v3
	v_addc_co_u32_e32 v3, vcc, 0, v13, vcc
	v_mov_b32_e32 v13, s3
	v_add_co_u32_e32 v0, vcc, s8, v0
	v_addc_co_u32_e32 v1, vcc, v1, v13, vcc
	global_load_dword v13, v[0:1], off
	v_mov_b32_e32 v18, s3
	v_add_co_u32_e32 v0, vcc, s8, v0
	v_addc_co_u32_e32 v1, vcc, v1, v18, vcc
	global_load_dword v18, v[0:1], off
	;; [unrolled: 4-line block ×5, first 2 shown]
	v_mov_b32_e32 v22, s3
	v_add_co_u32_e32 v0, vcc, s8, v0
	v_addc_co_u32_e32 v1, vcc, v1, v22, vcc
	global_load_dword v22, v[2:3], off offset:128
	global_load_dword v23, v[0:1], off
	v_mov_b32_e32 v27, s3
	v_add_co_u32_e32 v0, vcc, s8, v0
	v_addc_co_u32_e32 v1, vcc, v1, v27, vcc
	global_load_dword v27, v[0:1], off
	global_load_dword v29, v[2:3], off offset:1184
	v_mov_b32_e32 v28, s3
	v_add_co_u32_e32 v0, vcc, s8, v0
	s_waitcnt vmcnt(20)
	v_lshrrev_b32_e32 v24, 16, v4
	s_waitcnt vmcnt(19)
	v_mul_f16_sdwa v25, v5, v4 dst_sel:DWORD dst_unused:UNUSED_PAD src0_sel:WORD_1 src1_sel:DWORD
	v_mul_f16_sdwa v26, v5, v24 dst_sel:DWORD dst_unused:UNUSED_PAD src0_sel:WORD_1 src1_sel:DWORD
	v_fma_f16 v24, v5, v24, -v25
	global_load_dword v25, v[2:3], off offset:656
	v_addc_co_u32_e32 v1, vcc, v1, v28, vcc
	global_load_dword v28, v[0:1], off
	global_load_dword v30, v[2:3], off offset:1712
	v_fma_f16 v4, v5, v4, v26
	v_mov_b32_e32 v5, s3
	v_add_co_u32_e32 v0, vcc, s8, v0
	v_addc_co_u32_e32 v1, vcc, v1, v5, vcc
	global_load_dword v5, v[0:1], off
	global_load_dword v26, v[2:3], off offset:2240
	v_pack_b32_f16 v0, v4, v24
	s_waitcnt vmcnt(16)
	v_lshrrev_b32_e32 v1, 16, v17
	v_mul_f16_sdwa v2, v6, v1 dst_sel:DWORD dst_unused:UNUSED_PAD src0_sel:WORD_1 src1_sel:DWORD
	v_mul_f16_sdwa v3, v6, v17 dst_sel:DWORD dst_unused:UNUSED_PAD src0_sel:WORD_1 src1_sel:DWORD
	v_fma_f16 v2, v6, v17, v2
	v_fma_f16 v1, v6, v1, -v3
	v_pack_b32_f16 v1, v2, v1
	ds_write2_b32 v31, v0, v1 offset1:132
	s_waitcnt vmcnt(15)
	v_lshrrev_b32_e32 v0, 16, v14
	v_mul_f16_sdwa v1, v7, v0 dst_sel:DWORD dst_unused:UNUSED_PAD src0_sel:WORD_1 src1_sel:DWORD
	v_mul_f16_sdwa v2, v7, v14 dst_sel:DWORD dst_unused:UNUSED_PAD src0_sel:WORD_1 src1_sel:DWORD
	v_fma_f16 v1, v7, v14, v1
	v_fma_f16 v0, v7, v0, -v2
	v_pack_b32_f16 v0, v1, v0
	s_waitcnt vmcnt(14)
	v_lshrrev_b32_e32 v1, 16, v15
	v_mul_f16_sdwa v2, v8, v1 dst_sel:DWORD dst_unused:UNUSED_PAD src0_sel:WORD_1 src1_sel:DWORD
	v_mul_f16_sdwa v3, v8, v15 dst_sel:DWORD dst_unused:UNUSED_PAD src0_sel:WORD_1 src1_sel:DWORD
	v_fma_f16 v2, v8, v15, v2
	v_fma_f16 v1, v8, v1, -v3
	v_pack_b32_f16 v1, v2, v1
	v_add_u32_e32 v2, 0x400, v31
	ds_write2_b32 v2, v0, v1 offset0:8 offset1:140
	s_waitcnt vmcnt(13)
	v_lshrrev_b32_e32 v0, 16, v13
	v_mul_f16_sdwa v1, v9, v0 dst_sel:DWORD dst_unused:UNUSED_PAD src0_sel:WORD_1 src1_sel:DWORD
	v_mul_f16_sdwa v2, v9, v13 dst_sel:DWORD dst_unused:UNUSED_PAD src0_sel:WORD_1 src1_sel:DWORD
	v_fma_f16 v1, v9, v13, v1
	v_fma_f16 v0, v9, v0, -v2
	v_pack_b32_f16 v0, v1, v0
	s_waitcnt vmcnt(12)
	v_lshrrev_b32_e32 v1, 16, v18
	v_mul_f16_sdwa v2, v10, v1 dst_sel:DWORD dst_unused:UNUSED_PAD src0_sel:WORD_1 src1_sel:DWORD
	v_mul_f16_sdwa v3, v10, v18 dst_sel:DWORD dst_unused:UNUSED_PAD src0_sel:WORD_1 src1_sel:DWORD
	v_fma_f16 v2, v10, v18, v2
	v_fma_f16 v1, v10, v1, -v3
	v_pack_b32_f16 v1, v2, v1
	v_add_u32_e32 v2, 0x800, v31
	ds_write2_b32 v2, v0, v1 offset0:16 offset1:148
	s_waitcnt vmcnt(11)
	v_lshrrev_b32_e32 v0, 16, v19
	v_mul_f16_sdwa v1, v11, v0 dst_sel:DWORD dst_unused:UNUSED_PAD src0_sel:WORD_1 src1_sel:DWORD
	v_mul_f16_sdwa v2, v11, v19 dst_sel:DWORD dst_unused:UNUSED_PAD src0_sel:WORD_1 src1_sel:DWORD
	v_fma_f16 v1, v11, v19, v1
	v_fma_f16 v0, v11, v0, -v2
	v_pack_b32_f16 v0, v1, v0
	s_waitcnt vmcnt(10)
	v_lshrrev_b32_e32 v1, 16, v20
	v_mul_f16_sdwa v2, v12, v1 dst_sel:DWORD dst_unused:UNUSED_PAD src0_sel:WORD_1 src1_sel:DWORD
	v_mul_f16_sdwa v3, v12, v20 dst_sel:DWORD dst_unused:UNUSED_PAD src0_sel:WORD_1 src1_sel:DWORD
	v_fma_f16 v2, v12, v20, v2
	v_fma_f16 v1, v12, v1, -v3
	v_pack_b32_f16 v1, v2, v1
	v_add_u32_e32 v2, 0xc00, v31
	ds_write2_b32 v2, v0, v1 offset0:24 offset1:156
	s_waitcnt vmcnt(9)
	v_lshrrev_b32_e32 v0, 16, v21
	s_waitcnt vmcnt(8)
	v_mul_f16_sdwa v1, v22, v0 dst_sel:DWORD dst_unused:UNUSED_PAD src0_sel:WORD_1 src1_sel:DWORD
	v_mul_f16_sdwa v2, v22, v21 dst_sel:DWORD dst_unused:UNUSED_PAD src0_sel:WORD_1 src1_sel:DWORD
	v_fma_f16 v1, v22, v21, v1
	v_fma_f16 v0, v22, v0, -v2
	v_pack_b32_f16 v0, v1, v0
	s_waitcnt vmcnt(7)
	v_lshrrev_b32_e32 v1, 16, v23
	s_waitcnt vmcnt(4)
	v_mul_f16_sdwa v2, v25, v1 dst_sel:DWORD dst_unused:UNUSED_PAD src0_sel:WORD_1 src1_sel:DWORD
	v_mul_f16_sdwa v3, v25, v23 dst_sel:DWORD dst_unused:UNUSED_PAD src0_sel:WORD_1 src1_sel:DWORD
	v_fma_f16 v2, v25, v23, v2
	v_fma_f16 v1, v25, v1, -v3
	v_pack_b32_f16 v1, v2, v1
	v_add_u32_e32 v2, 0x1000, v31
	ds_write2_b32 v2, v0, v1 offset0:32 offset1:164
	v_lshrrev_b32_e32 v0, 16, v27
	v_mul_f16_sdwa v1, v29, v0 dst_sel:DWORD dst_unused:UNUSED_PAD src0_sel:WORD_1 src1_sel:DWORD
	v_mul_f16_sdwa v2, v29, v27 dst_sel:DWORD dst_unused:UNUSED_PAD src0_sel:WORD_1 src1_sel:DWORD
	v_fma_f16 v1, v29, v27, v1
	v_fma_f16 v0, v29, v0, -v2
	v_pack_b32_f16 v0, v1, v0
	s_waitcnt vmcnt(3)
	v_lshrrev_b32_e32 v1, 16, v28
	s_waitcnt vmcnt(2)
	v_mul_f16_sdwa v2, v30, v1 dst_sel:DWORD dst_unused:UNUSED_PAD src0_sel:WORD_1 src1_sel:DWORD
	v_mul_f16_sdwa v3, v30, v28 dst_sel:DWORD dst_unused:UNUSED_PAD src0_sel:WORD_1 src1_sel:DWORD
	v_fma_f16 v2, v30, v28, v2
	v_fma_f16 v1, v30, v1, -v3
	v_pack_b32_f16 v1, v2, v1
	v_add_u32_e32 v2, 0x1400, v31
	ds_write2_b32 v2, v0, v1 offset0:40 offset1:172
	s_waitcnt vmcnt(1)
	v_lshrrev_b32_e32 v0, 16, v5
	s_waitcnt vmcnt(0)
	v_mul_f16_sdwa v1, v26, v0 dst_sel:DWORD dst_unused:UNUSED_PAD src0_sel:WORD_1 src1_sel:DWORD
	v_mul_f16_sdwa v2, v26, v5 dst_sel:DWORD dst_unused:UNUSED_PAD src0_sel:WORD_1 src1_sel:DWORD
	v_fma_f16 v1, v26, v5, v1
	v_fma_f16 v0, v26, v0, -v2
	v_pack_b32_f16 v0, v1, v0
	ds_write_b32 v31, v0 offset:6336
.LBB0_3:
	s_or_b64 exec, exec, s[14:15]
	v_mov_b32_e32 v0, 0
	s_waitcnt lgkmcnt(0)
	s_barrier
	s_waitcnt lgkmcnt(0)
                                        ; implicit-def: $vgpr15
                                        ; implicit-def: $vgpr11
                                        ; implicit-def: $vgpr9
                                        ; implicit-def: $vgpr7
                                        ; implicit-def: $vgpr5
                                        ; implicit-def: $vgpr3
	s_and_saveexec_b64 s[2:3], s[0:1]
	s_cbranch_execz .LBB0_5
; %bb.4:
	v_add_u32_e32 v2, 0x400, v31
	v_add_u32_e32 v4, 0x800, v31
	v_add_u32_e32 v6, 0xc00, v31
	v_add_u32_e32 v8, 0x1000, v31
	v_add_u32_e32 v10, 0x1400, v31
	ds_read2_b32 v[0:1], v31 offset1:132
	ds_read2_b32 v[2:3], v2 offset0:8 offset1:140
	ds_read2_b32 v[4:5], v4 offset0:16 offset1:148
	;; [unrolled: 1-line block ×5, first 2 shown]
	ds_read_b32 v15, v31 offset:6336
.LBB0_5:
	s_or_b64 exec, exec, s[2:3]
	s_waitcnt lgkmcnt(0)
	v_pk_add_f16 v17, v1, v15 neg_lo:[0,1] neg_hi:[0,1]
	s_mov_b32 s26, 0xb770
	v_pk_add_f16 v19, v15, v1
	s_movk_i32 s10, 0x3b15
	v_mul_f16_sdwa v23, v17, s26 dst_sel:DWORD dst_unused:UNUSED_PAD src0_sel:WORD_1 src1_sel:DWORD
	s_mov_b32 s25, 0xba95
	v_pk_add_f16 v20, v2, v11 neg_lo:[0,1] neg_hi:[0,1]
	v_fma_f16 v12, v19, s10, v23
	v_lshrrev_b32_e32 v39, 16, v19
	s_movk_i32 s11, 0x388b
	v_mul_f16_e32 v28, 0xba95, v17
	s_mov_b32 s24, 0xbbf1
	v_pk_add_f16 v21, v11, v2
	v_mul_f16_sdwa v26, v20, s25 dst_sel:DWORD dst_unused:UNUSED_PAD src0_sel:WORD_1 src1_sel:DWORD
	v_add_f16_e32 v12, v12, v0
	v_fma_f16 v13, v39, s11, -v28
	s_movk_i32 s16, 0x2fb7
	v_mul_f16_sdwa v40, v17, s24 dst_sel:DWORD dst_unused:UNUSED_PAD src0_sel:WORD_1 src1_sel:DWORD
	v_fma_f16 v22, v21, s11, v26
	v_lshrrev_b32_e32 v44, 16, v21
	s_mov_b32 s17, 0xb5ac
	v_mul_f16_e32 v37, 0xbb7b, v20
	s_mov_b32 s18, 0xb3a8
	v_add_f16_sdwa v13, v13, v0 dst_sel:DWORD dst_unused:UNUSED_PAD src0_sel:DWORD src1_sel:WORD_1
	v_mul_f16_e32 v46, 0xbbf1, v17
	v_fma_f16 v14, v19, s16, v40
	v_add_f16_e32 v12, v22, v12
	v_fma_f16 v22, v44, s17, -v37
	s_mov_b32 s19, 0xbbc4
	v_mul_f16_sdwa v45, v20, s18 dst_sel:DWORD dst_unused:UNUSED_PAD src0_sel:WORD_1 src1_sel:DWORD
	v_add_f16_e32 v14, v14, v0
	v_fma_f16 v18, v39, s16, -v46
	v_add_f16_e32 v13, v22, v13
	v_fma_f16 v22, v21, s19, v45
	v_mul_f16_e32 v51, 0xb3a8, v20
	v_add_f16_sdwa v18, v18, v0 dst_sel:DWORD dst_unused:UNUSED_PAD src0_sel:DWORD src1_sel:WORD_1
	v_add_f16_e32 v14, v22, v14
	v_fma_f16 v22, v44, s19, -v51
	v_add_f16_e32 v18, v22, v18
	v_pk_add_f16 v22, v3, v10 neg_lo:[0,1] neg_hi:[0,1]
	v_pk_add_f16 v24, v10, v3
	v_mul_f16_sdwa v30, v22, s24 dst_sel:DWORD dst_unused:UNUSED_PAD src0_sel:WORD_1 src1_sel:DWORD
	v_fma_f16 v25, v24, s16, v30
	v_lshrrev_b32_e32 v48, 16, v24
	v_mul_f16_e32 v43, 0xb3a8, v22
	s_movk_i32 s27, 0x3b7b
	v_add_f16_e32 v12, v25, v12
	v_fma_f16 v25, v48, s19, -v43
	v_mul_f16_sdwa v50, v22, s27 dst_sel:DWORD dst_unused:UNUSED_PAD src0_sel:WORD_1 src1_sel:DWORD
	v_add_f16_e32 v13, v25, v13
	v_fma_f16 v25, v24, s17, v50
	v_mul_f16_e32 v56, 0x3b7b, v22
	v_add_f16_e32 v14, v25, v14
	v_fma_f16 v25, v48, s17, -v56
	v_add_f16_e32 v18, v25, v18
	s_mov_b32 s20, 0xbb7b
	v_pk_add_f16 v25, v4, v9 neg_lo:[0,1] neg_hi:[0,1]
	v_pk_add_f16 v27, v9, v4
	v_mul_f16_sdwa v41, v25, s20 dst_sel:DWORD dst_unused:UNUSED_PAD src0_sel:WORD_1 src1_sel:DWORD
	v_fma_f16 v29, v27, s17, v41
	s_mov_b32 s22, 0xb9fd
	v_lshrrev_b32_e32 v53, 16, v27
	v_mul_f16_e32 v49, 0x394e, v25
	s_movk_i32 s21, 0x3770
	v_add_f16_e32 v12, v29, v12
	v_fma_f16 v29, v53, s22, -v49
	v_mul_f16_sdwa v55, v25, s21 dst_sel:DWORD dst_unused:UNUSED_PAD src0_sel:WORD_1 src1_sel:DWORD
	v_add_f16_e32 v13, v29, v13
	v_fma_f16 v29, v27, s10, v55
	v_mul_f16_e32 v60, 0x3770, v25
	v_add_f16_e32 v14, v29, v14
	v_fma_f16 v29, v53, s10, -v60
	v_add_f16_e32 v18, v29, v18
	s_mov_b32 s23, 0xb94e
	v_pk_add_f16 v29, v5, v8 neg_lo:[0,1] neg_hi:[0,1]
	v_pk_add_f16 v36, v8, v5
	v_mul_f16_sdwa v47, v29, s23 dst_sel:DWORD dst_unused:UNUSED_PAD src0_sel:WORD_1 src1_sel:DWORD
	v_fma_f16 v33, v36, s22, v47
	v_lshrrev_b32_e32 v57, 16, v36
	v_mul_f16_e32 v54, 0x3bf1, v29
	v_add_f16_e32 v12, v33, v12
	v_fma_f16 v33, v57, s16, -v54
	v_mul_f16_sdwa v58, v29, s25 dst_sel:DWORD dst_unused:UNUSED_PAD src0_sel:WORD_1 src1_sel:DWORD
	v_add_f16_e32 v13, v33, v13
	v_fma_f16 v33, v36, s11, v58
	v_mul_f16_e32 v68, 0xba95, v29
	v_pk_add_f16 v38, v6, v7 neg_lo:[0,1] neg_hi:[0,1]
	v_add_f16_e32 v33, v33, v14
	v_fma_f16 v14, v57, s11, -v68
	v_pk_add_f16 v42, v7, v6
	v_mul_f16_sdwa v52, v38, s18 dst_sel:DWORD dst_unused:UNUSED_PAD src0_sel:WORD_1 src1_sel:DWORD
	v_add_f16_e32 v18, v14, v18
	v_fma_f16 v14, v42, s19, v52
	v_lshrrev_b32_e32 v61, 16, v42
	v_mul_f16_e32 v59, 0x3770, v38
	v_add_f16_e32 v34, v14, v12
	v_fma_f16 v12, v61, s10, -v59
	v_mul_f16_e32 v76, 0xb94e, v38
	v_add_f16_e32 v14, v12, v13
	v_fma_f16 v13, v61, s22, -v76
	s_mov_b32 s2, 0x3b15388b
	v_add_f16_e32 v13, v13, v18
	s_mov_b32 s3, 0xba95b770
	v_pk_mul_f16 v18, v19, s2
	s_mov_b32 s2, 0x388bb5ac
	v_pk_fma_f16 v62, v17, s3, v18 op_sel:[0,0,1] op_sel_hi:[1,1,0] neg_lo:[1,0,0] neg_hi:[1,0,0]
	v_pk_fma_f16 v63, v17, s3, v18 op_sel:[0,0,1] op_sel_hi:[1,1,0]
	s_mov_b32 s3, 0xbb7bba95
	v_pk_mul_f16 v18, v21, s2
	s_mov_b32 s2, 0x2fb7bbc4
	v_pk_fma_f16 v64, v20, s3, v18 op_sel:[0,0,1] op_sel_hi:[1,1,0] neg_lo:[1,0,0] neg_hi:[1,0,0]
	v_pk_fma_f16 v66, v20, s3, v18 op_sel:[0,0,1] op_sel_hi:[1,1,0]
	;; [unrolled: 5-line block ×4, first 2 shown]
	s_mov_b32 s3, 0x3bf1b94e
	v_pk_mul_f16 v18, v36, s2
	v_pk_fma_f16 v72, v29, s3, v18 op_sel:[0,0,1] op_sel_hi:[1,1,0] neg_lo:[1,0,0] neg_hi:[1,0,0]
	v_pk_fma_f16 v73, v29, s3, v18 op_sel:[0,0,1] op_sel_hi:[1,1,0]
	v_add_f16_sdwa v18, v62, v0 dst_sel:DWORD dst_unused:UNUSED_PAD src0_sel:DWORD src1_sel:WORD_1
	v_mul_f16_sdwa v65, v38, s23 dst_sel:DWORD dst_unused:UNUSED_PAD src0_sel:WORD_1 src1_sel:DWORD
	v_add_f16_e32 v18, v64, v18
	v_fma_f16 v12, v42, s22, v65
	s_mov_b32 s2, 0xbbc43b15
	v_add_f16_e32 v18, v67, v18
	v_add_f16_e32 v12, v12, v33
	s_mov_b32 s3, 0x3770b3a8
	v_add_f16_e32 v18, v70, v18
	v_pk_mul_f16 v33, v42, s2
	v_add_f16_e32 v18, v72, v18
	v_pk_fma_f16 v74, v38, s3, v33 op_sel:[0,0,1] op_sel_hi:[1,1,0] neg_lo:[1,0,0] neg_hi:[1,0,0]
	v_add_f16_e32 v35, v74, v18
	v_add_f16_sdwa v18, v63, v0 dst_sel:DWORD dst_unused:UNUSED_PAD src0_sel:WORD_1 src1_sel:DWORD
	s_load_dwordx2 s[8:9], s[4:5], 0x20
	s_load_dwordx2 s[14:15], s[4:5], 0x8
	v_add_f16_sdwa v18, v66, v18 dst_sel:DWORD dst_unused:UNUSED_PAD src0_sel:WORD_1 src1_sel:DWORD
	v_add_f16_sdwa v18, v69, v18 dst_sel:DWORD dst_unused:UNUSED_PAD src0_sel:WORD_1 src1_sel:DWORD
	;; [unrolled: 1-line block ×3, first 2 shown]
	v_pk_fma_f16 v75, v38, s3, v33 op_sel:[0,0,1] op_sel_hi:[1,1,0]
	v_add_f16_sdwa v18, v73, v18 dst_sel:DWORD dst_unused:UNUSED_PAD src0_sel:WORD_1 src1_sel:DWORD
	s_movk_i32 s28, 0x394e
	s_movk_i32 s4, 0x3bf1
	v_add_f16_sdwa v18, v75, v18 dst_sel:DWORD dst_unused:UNUSED_PAD src0_sel:WORD_1 src1_sel:DWORD
	v_mul_lo_u16_e32 v33, 13, v32
	s_waitcnt lgkmcnt(0)
	s_barrier
	s_and_saveexec_b64 s[2:3], s[0:1]
	s_cbranch_execz .LBB0_7
; %bb.6:
	v_mul_f16_e32 v77, 0xb5ac, v39
	v_fma_f16 v78, v17, s27, v77
	v_mul_f16_e32 v79, 0xb9fd, v44
	v_add_f16_sdwa v78, v78, v0 dst_sel:DWORD dst_unused:UNUSED_PAD src0_sel:DWORD src1_sel:WORD_1
	v_fma_f16 v80, v20, s23, v79
	v_add_f16_e32 v78, v80, v78
	v_mul_f16_e32 v80, 0x3b15, v48
	v_fma_f16 v81, v22, s26, v80
	v_add_f16_e32 v78, v81, v78
	v_mul_f16_e32 v81, 0x2fb7, v53
	;; [unrolled: 3-line block ×4, first 2 shown]
	v_fma_f16 v84, v38, s25, v83
	v_fma_f16 v77, v17, s20, v77
	v_add_f16_e32 v78, v84, v78
	v_mul_f16_sdwa v84, v17, s20 dst_sel:DWORD dst_unused:UNUSED_PAD src0_sel:WORD_1 src1_sel:DWORD
	v_add_f16_sdwa v77, v77, v0 dst_sel:DWORD dst_unused:UNUSED_PAD src0_sel:DWORD src1_sel:WORD_1
	v_fma_f16 v79, v20, s28, v79
	v_fma_f16 v85, v19, s17, v84
	v_mul_f16_sdwa v86, v20, s28 dst_sel:DWORD dst_unused:UNUSED_PAD src0_sel:WORD_1 src1_sel:DWORD
	v_add_f16_e32 v77, v79, v77
	v_fma_f16 v79, v22, s21, v80
	v_add_f16_e32 v85, v85, v0
	v_fma_f16 v87, v21, s22, v86
	s_movk_i32 s29, 0x33a8
	v_add_f16_e32 v77, v79, v77
	v_fma_f16 v79, v25, s24, v81
	v_add_f16_e32 v85, v87, v85
	v_mul_f16_sdwa v87, v22, s21 dst_sel:DWORD dst_unused:UNUSED_PAD src0_sel:WORD_1 src1_sel:DWORD
	s_movk_i32 s5, 0x3a95
	v_add_f16_e32 v77, v79, v77
	v_fma_f16 v79, v29, s29, v82
	v_fma_f16 v88, v24, s10, v87
	v_add_f16_e32 v77, v79, v77
	v_fma_f16 v79, v38, s5, v83
	v_add_f16_e32 v85, v88, v85
	v_mul_f16_sdwa v88, v25, s24 dst_sel:DWORD dst_unused:UNUSED_PAD src0_sel:WORD_1 src1_sel:DWORD
	v_add_f16_e32 v77, v79, v77
	v_fma_f16 v79, v19, s17, -v84
	v_fma_f16 v89, v27, s16, v88
	v_add_f16_e32 v79, v79, v0
	v_fma_f16 v80, v21, s22, -v86
	v_add_f16_e32 v85, v89, v85
	v_mul_f16_sdwa v89, v29, s29 dst_sel:DWORD dst_unused:UNUSED_PAD src0_sel:WORD_1 src1_sel:DWORD
	v_add_f16_e32 v79, v80, v79
	v_fma_f16 v80, v24, s10, -v87
	v_fma_f16 v90, v36, s19, v89
	v_add_f16_e32 v79, v80, v79
	v_fma_f16 v80, v27, s16, -v88
	v_add_f16_e32 v85, v90, v85
	v_mul_f16_sdwa v90, v38, s5 dst_sel:DWORD dst_unused:UNUSED_PAD src0_sel:WORD_1 src1_sel:DWORD
	v_add_f16_e32 v79, v80, v79
	v_fma_f16 v80, v36, s19, -v89
	v_add_f16_e32 v79, v80, v79
	v_fma_f16 v80, v42, s11, -v90
	v_add_f16_e32 v79, v80, v79
	v_mul_f16_e32 v80, 0x2fb7, v39
	v_add_f16_e32 v46, v46, v80
	v_mul_f16_e32 v80, 0xbbc4, v44
	v_add_f16_e32 v51, v51, v80
	v_add_f16_sdwa v46, v46, v0 dst_sel:DWORD dst_unused:UNUSED_PAD src0_sel:DWORD src1_sel:WORD_1
	v_fma_f16 v91, v42, s11, v90
	v_add_f16_e32 v46, v51, v46
	v_mul_f16_e32 v51, 0xb5ac, v48
	v_add_f16_e32 v85, v91, v85
	v_mul_f16_e32 v91, 0xb9fd, v39
	v_add_f16_e32 v51, v56, v51
	v_fma_f16 v92, v17, s28, v91
	v_mul_f16_e32 v93, 0x2fb7, v44
	v_add_f16_e32 v46, v51, v46
	v_mul_f16_e32 v51, 0x3b15, v53
	v_add_f16_sdwa v92, v92, v0 dst_sel:DWORD dst_unused:UNUSED_PAD src0_sel:DWORD src1_sel:WORD_1
	v_fma_f16 v94, v20, s24, v93
	v_add_f16_e32 v51, v60, v51
	v_add_f16_e32 v92, v94, v92
	v_mul_f16_e32 v94, 0x388b, v48
	v_add_f16_e32 v46, v51, v46
	v_mul_f16_e32 v51, 0x388b, v57
	v_fma_f16 v95, v22, s5, v94
	v_add_f16_e32 v51, v68, v51
	v_add_f16_e32 v92, v95, v92
	v_mul_f16_e32 v95, 0xbbc4, v53
	v_add_f16_e32 v46, v51, v46
	v_mul_f16_e32 v51, 0xb9fd, v61
	v_fma_f16 v96, v25, s18, v95
	v_add_f16_e32 v51, v76, v51
	v_add_f16_e32 v92, v96, v92
	v_mul_f16_e32 v96, 0x3b15, v57
	v_mul_f16_e32 v39, 0x388b, v39
	v_add_f16_e32 v46, v51, v46
	v_mul_f16_e32 v51, 0x2fb7, v19
	v_fma_f16 v97, v29, s26, v96
	v_fma_f16 v91, v17, s23, v91
	v_sub_f16_e32 v40, v51, v40
	v_mul_f16_e32 v51, 0xbbc4, v21
	v_mul_f16_e32 v44, 0xb5ac, v44
	v_add_f16_e32 v28, v28, v39
	v_add_f16_e32 v92, v97, v92
	v_mul_f16_e32 v97, 0xb5ac, v61
	v_add_f16_sdwa v91, v91, v0 dst_sel:DWORD dst_unused:UNUSED_PAD src0_sel:DWORD src1_sel:WORD_1
	v_fma_f16 v93, v20, s4, v93
	v_sub_f16_e32 v45, v51, v45
	v_add_f16_e32 v40, v40, v0
	v_mul_f16_e32 v48, 0xbbc4, v48
	v_add_f16_sdwa v28, v28, v0 dst_sel:DWORD dst_unused:UNUSED_PAD src0_sel:DWORD src1_sel:WORD_1
	v_add_f16_e32 v37, v37, v44
	v_fma_f16 v98, v38, s27, v97
	v_add_f16_e32 v91, v93, v91
	v_fma_f16 v93, v22, s25, v94
	v_add_f16_e32 v40, v45, v40
	v_mul_f16_e32 v45, 0xb5ac, v24
	v_mul_f16_e32 v53, 0xb9fd, v53
	v_add_f16_e32 v28, v37, v28
	v_add_f16_e32 v37, v43, v48
	;; [unrolled: 1-line block ×3, first 2 shown]
	v_mul_f16_sdwa v98, v17, s23 dst_sel:DWORD dst_unused:UNUSED_PAD src0_sel:WORD_1 src1_sel:DWORD
	v_add_f16_e32 v91, v93, v91
	v_fma_f16 v93, v25, s29, v95
	v_alignbit_b32 v56, v0, v0, 16
	v_sub_f16_e32 v45, v45, v50
	v_mul_f16_e32 v57, 0x2fb7, v57
	v_add_f16_e32 v28, v37, v28
	v_add_f16_e32 v37, v49, v53
	v_fma_f16 v99, v19, s22, v98
	v_mul_f16_sdwa v100, v20, s4 dst_sel:DWORD dst_unused:UNUSED_PAD src0_sel:WORD_1 src1_sel:DWORD
	v_add_f16_e32 v91, v93, v91
	v_fma_f16 v93, v29, s21, v96
	v_add_f16_e32 v40, v45, v40
	v_mul_f16_e32 v45, 0x3b15, v27
	v_mul_f16_e32 v61, 0x3b15, v61
	v_add_f16_e32 v28, v37, v28
	v_add_f16_e32 v37, v54, v57
	v_pk_add_f16 v1, v1, v56 op_sel:[0,1] op_sel_hi:[1,0]
	v_add_f16_e32 v99, v99, v0
	v_fma_f16 v101, v21, s16, v100
	v_add_f16_e32 v91, v93, v91
	v_fma_f16 v93, v38, s20, v97
	v_mul_f16_e32 v60, 0x3b15, v19
	v_sub_f16_e32 v45, v45, v55
	v_add_f16_e32 v28, v37, v28
	v_add_f16_e32 v37, v59, v61
	s_mov_b32 s24, 0xffff
	v_pk_add_f16 v1, v2, v1
	v_add_f16_e32 v99, v101, v99
	v_mul_f16_sdwa v101, v22, s25 dst_sel:DWORD dst_unused:UNUSED_PAD src0_sel:WORD_1 src1_sel:DWORD
	v_add_f16_e32 v91, v93, v91
	v_fma_f16 v93, v19, s22, -v98
	v_mul_f16_e32 v51, 0x388b, v21
	v_add_f16_e32 v40, v45, v40
	v_mul_f16_e32 v45, 0x388b, v36
	v_add_f16_e32 v28, v37, v28
	v_bfi_b32 v37, s24, v63, v62
	v_sub_f16_e32 v23, v60, v23
	v_pk_add_f16 v1, v3, v1
	v_fma_f16 v102, v24, s11, v101
	v_add_f16_e32 v93, v93, v0
	v_mul_f16_e32 v50, 0x2fb7, v24
	v_sub_f16_e32 v45, v45, v58
	v_bfi_b32 v39, s24, v66, v64
	v_add_f16_e32 v0, v23, v0
	v_sub_f16_e32 v23, v51, v26
	v_pk_add_f16 v1, v4, v1
	v_pk_add_f16 v2, v37, v56
	v_add_f16_e32 v99, v102, v99
	v_mul_f16_sdwa v102, v25, s29 dst_sel:DWORD dst_unused:UNUSED_PAD src0_sel:WORD_1 src1_sel:DWORD
	v_mul_f16_e32 v55, 0xb5ac, v27
	v_add_f16_e32 v40, v45, v40
	v_mul_f16_e32 v45, 0xb9fd, v42
	v_bfi_b32 v43, s24, v69, v67
	v_add_f16_e32 v0, v23, v0
	v_sub_f16_e32 v23, v50, v30
	v_pk_add_f16 v1, v5, v1
	v_pk_add_f16 v2, v39, v2
	v_fma_f16 v103, v27, s19, v102
	v_fma_f16 v94, v21, s16, -v100
	v_mul_f16_e32 v58, 0xb9fd, v36
	v_sub_f16_e32 v45, v45, v65
	v_bfi_b32 v44, s24, v71, v70
	v_add_f16_e32 v0, v23, v0
	v_sub_f16_e32 v23, v55, v41
	v_pk_add_f16 v1, v6, v1
	v_pk_add_f16 v2, v43, v2
	v_add_f16_e32 v99, v103, v99
	v_mul_f16_sdwa v103, v29, s21 dst_sel:DWORD dst_unused:UNUSED_PAD src0_sel:WORD_1 src1_sel:DWORD
	v_add_f16_e32 v93, v94, v93
	v_fma_f16 v94, v24, s11, -v101
	v_mul_f16_e32 v65, 0xbbc4, v42
	v_add_f16_e32 v40, v45, v40
	v_bfi_b32 v45, s24, v73, v72
	v_add_f16_e32 v0, v23, v0
	v_sub_f16_e32 v23, v58, v47
	v_pk_add_f16 v1, v7, v1
	v_pk_add_f16 v2, v44, v2
	v_fma_f16 v104, v36, s10, v103
	v_add_f16_e32 v93, v94, v93
	v_fma_f16 v94, v27, s19, -v102
	v_bfi_b32 v48, s24, v75, v74
	v_add_f16_e32 v0, v23, v0
	v_sub_f16_e32 v23, v65, v52
	v_pk_add_f16 v1, v8, v1
	v_pk_add_f16 v2, v45, v2
	v_add_f16_e32 v99, v104, v99
	v_mul_f16_sdwa v104, v38, s20 dst_sel:DWORD dst_unused:UNUSED_PAD src0_sel:WORD_1 src1_sel:DWORD
	v_add_f16_e32 v93, v94, v93
	v_fma_f16 v94, v36, s10, -v103
	v_add_f16_e32 v0, v23, v0
	v_pk_add_f16 v1, v9, v1
	v_pk_add_f16 v2, v48, v2
	v_add_f16_e32 v93, v94, v93
	v_fma_f16 v94, v42, s17, -v104
	v_lshlrev_b32_e32 v23, 2, v33
	v_pk_add_f16 v1, v10, v1
	v_alignbit_b32 v3, v28, v2, 16
	v_pack_b32_f16 v0, v0, v2
	v_add_f16_e32 v93, v94, v93
	v_pk_add_f16 v1, v11, v1
	ds_write2_b32 v23, v0, v3 offset0:1 offset1:2
	v_pack_b32_f16 v0, v40, v46
	v_pack_b32_f16 v2, v79, v77
	v_pk_add_f16 v1, v15, v1
	ds_write2_b32 v23, v0, v2 offset0:3 offset1:4
	v_pack_b32_f16 v0, v93, v91
	ds_write2_b32 v23, v1, v0 offset1:5
	v_pk_mul_f16 v0, v19, s19 op_sel_hi:[1,0]
	v_pk_fma_f16 v1, v17, s18, v0 op_sel:[0,0,1] op_sel_hi:[1,0,0] neg_lo:[1,0,0] neg_hi:[1,0,0]
	v_pk_mul_f16 v2, v21, s10 op_sel_hi:[1,0]
	v_pk_add_f16 v1, v1, v56
	v_pk_fma_f16 v3, v20, s21, v2 op_sel:[0,0,1] op_sel_hi:[1,0,0] neg_lo:[1,0,0] neg_hi:[1,0,0]
	v_pk_add_f16 v1, v3, v1
	v_pk_mul_f16 v3, v24, s22 op_sel_hi:[1,0]
	v_pk_fma_f16 v4, v22, s23, v3 op_sel:[0,0,1] op_sel_hi:[1,0,0] neg_lo:[1,0,0] neg_hi:[1,0,0]
	v_pk_add_f16 v1, v4, v1
	v_pk_mul_f16 v4, v27, s11 op_sel_hi:[1,0]
	v_pk_fma_f16 v0, v17, s18, v0 op_sel:[0,0,1] op_sel_hi:[1,0,0]
	v_pk_fma_f16 v5, v25, s5, v4 op_sel:[0,0,1] op_sel_hi:[1,0,0] neg_lo:[1,0,0] neg_hi:[1,0,0]
	v_pk_add_f16 v0, v0, v56
	v_pk_fma_f16 v2, v20, s21, v2 op_sel:[0,0,1] op_sel_hi:[1,0,0]
	v_pk_add_f16 v1, v5, v1
	v_pk_mul_f16 v5, v36, s17 op_sel_hi:[1,0]
	v_pk_add_f16 v0, v2, v0
	v_pk_fma_f16 v2, v22, s23, v3 op_sel:[0,0,1] op_sel_hi:[1,0,0]
	v_pk_fma_f16 v6, v29, s20, v5 op_sel:[0,0,1] op_sel_hi:[1,0,0] neg_lo:[1,0,0] neg_hi:[1,0,0]
	v_pk_add_f16 v0, v2, v0
	v_pk_fma_f16 v2, v25, s5, v4 op_sel:[0,0,1] op_sel_hi:[1,0,0]
	v_pk_add_f16 v1, v6, v1
	v_pk_mul_f16 v6, v42, s16 op_sel_hi:[1,0]
	v_pk_add_f16 v0, v2, v0
	v_pk_fma_f16 v2, v29, s20, v5 op_sel:[0,0,1] op_sel_hi:[1,0,0]
	v_pk_fma_f16 v7, v38, s4, v6 op_sel:[0,0,1] op_sel_hi:[1,0,0] neg_lo:[1,0,0] neg_hi:[1,0,0]
	v_pk_add_f16 v0, v2, v0
	v_pk_fma_f16 v2, v38, s4, v6 op_sel:[0,0,1] op_sel_hi:[1,0,0]
	v_fma_f16 v105, v42, s17, v104
	v_pk_add_f16 v1, v7, v1
	v_pk_add_f16 v0, v2, v0
	v_add_f16_e32 v99, v105, v99
	v_alignbit_b32 v2, v1, v0, 16
	v_alignbit_b32 v0, v0, v1, 16
	ds_write2_b32 v23, v0, v2 offset0:6 offset1:7
	v_pack_b32_f16 v0, v85, v78
	v_pack_b32_f16 v1, v99, v92
	s_mov_b32 s4, 0x5040100
	ds_write2_b32 v23, v1, v0 offset0:8 offset1:9
	v_perm_b32 v0, v14, v18, s4
	v_perm_b32 v1, v13, v12, s4
	ds_write2_b32 v23, v1, v0 offset0:10 offset1:11
	v_perm_b32 v0, v35, v34, s4
	ds_write_b32 v23, v0 offset:48
.LBB0_7:
	s_or_b64 exec, exec, s[2:3]
	v_add_u32_e32 v4, 0xf00, v31
	s_waitcnt lgkmcnt(0)
	s_barrier
	v_add_u32_e32 v0, 0x980, v31
	ds_read2_b32 v[6:7], v4 offset0:54 offset1:210
	v_add_u32_e32 v4, 0x400, v31
	v_add_u32_e32 v8, 0x1400, v31
	ds_read2_b32 v[2:3], v31 offset1:156
	ds_read2_b32 v[0:1], v0 offset0:16 offset1:250
	ds_read2_b32 v[4:5], v4 offset0:56 offset1:212
	;; [unrolled: 1-line block ×3, first 2 shown]
	s_movk_i32 s2, 0x4e
	v_cmp_gt_u16_e64 s[2:3], s2, v32
	s_and_saveexec_b64 s[4:5], s[2:3]
	s_cbranch_execz .LBB0_9
; %bb.8:
	ds_read_b32 v12, v31 offset:3120
	ds_read_b32 v18, v31 offset:6552
	s_waitcnt lgkmcnt(1)
	v_lshrrev_b32_e32 v13, 16, v12
	s_waitcnt lgkmcnt(0)
	v_lshrrev_b32_e32 v14, 16, v18
.LBB0_9:
	s_or_b64 exec, exec, s[4:5]
	s_movk_i32 s4, 0x1d4
	v_add_co_u32_e32 v15, vcc, s4, v32
	s_movk_i32 s4, 0x270
	v_add_co_u32_e32 v17, vcc, s4, v32
	s_movk_i32 s4, 0x4f
	v_mul_lo_u16_sdwa v10, v32, s4 dst_sel:DWORD dst_unused:UNUSED_PAD src0_sel:BYTE_0 src1_sel:DWORD
	v_lshrrev_b16_e32 v23, 10, v10
	s_movk_i32 s4, 0x4ec5
	v_mul_lo_u16_e32 v10, 13, v23
	v_mul_u32_u24_sdwa v22, v15, s4 dst_sel:DWORD dst_unused:UNUSED_PAD src0_sel:WORD_0 src1_sel:DWORD
	v_sub_u16_e32 v10, v32, v10
	v_lshrrev_b32_e32 v28, 18, v22
	v_add_co_u32_e32 v11, vcc, 0x138, v32
	v_and_b32_e32 v24, 0xff, v10
	v_add_u16_e32 v10, 0x9c, v32
	v_mul_lo_u16_e32 v22, 13, v28
	v_mul_u32_u24_e32 v20, 0x4ec5, v10
	v_mul_u32_u24_sdwa v21, v11, s4 dst_sel:DWORD dst_unused:UNUSED_PAD src0_sel:WORD_0 src1_sel:DWORD
	v_sub_u16_e32 v29, v15, v22
	v_mul_u32_u24_sdwa v22, v17, s4 dst_sel:DWORD dst_unused:UNUSED_PAD src0_sel:WORD_0 src1_sel:DWORD
	v_lshrrev_b32_e32 v25, 18, v20
	v_lshrrev_b32_e32 v27, 18, v21
	;; [unrolled: 1-line block ×3, first 2 shown]
	v_mul_lo_u16_e32 v20, 13, v25
	v_mul_lo_u16_e32 v21, 13, v27
	;; [unrolled: 1-line block ×3, first 2 shown]
	v_lshlrev_b32_e32 v19, 2, v24
	v_sub_u16_e32 v26, v10, v20
	v_sub_u16_e32 v11, v11, v21
	;; [unrolled: 1-line block ×3, first 2 shown]
	v_lshlrev_b32_e32 v20, 2, v26
	v_lshlrev_b32_e32 v21, 2, v11
	v_lshlrev_b32_e32 v15, 2, v29
	v_lshlrev_b32_e32 v17, 2, v36
	global_load_dword v46, v19, s[14:15]
	global_load_dword v44, v21, s[14:15]
	;; [unrolled: 1-line block ×5, first 2 shown]
	v_add_u16_e32 v22, 0x30c, v32
	v_mul_u32_u24_e32 v19, 0x4ec5, v22
	v_lshrrev_b32_e32 v38, 18, v19
	v_mul_lo_u16_e32 v19, 13, v38
	v_sub_u16_e32 v39, v22, v19
	v_lshlrev_b32_e32 v15, 2, v39
	global_load_dword v41, v15, s[14:15]
	s_waitcnt lgkmcnt(2)
	v_lshrrev_b32_e32 v17, 16, v1
	v_lshrrev_b32_e32 v20, 16, v6
	s_waitcnt lgkmcnt(0)
	v_lshrrev_b32_e32 v48, 16, v9
	v_lshrrev_b32_e32 v15, 16, v2
	;; [unrolled: 1-line block ×7, first 2 shown]
	s_load_dwordx4 s[8:11], s[8:9], 0x0
	s_waitcnt vmcnt(0) lgkmcnt(0)
	s_barrier
	v_lshrrev_b32_e32 v37, 16, v5
	v_mul_f16_sdwa v50, v1, v46 dst_sel:DWORD dst_unused:UNUSED_PAD src0_sel:DWORD src1_sel:WORD_1
	v_mul_f16_sdwa v49, v17, v46 dst_sel:DWORD dst_unused:UNUSED_PAD src0_sel:DWORD src1_sel:WORD_1
	;; [unrolled: 1-line block ×3, first 2 shown]
	v_fma_f16 v17, v17, v46, v50
	v_mul_f16_sdwa v57, v48, v42 dst_sel:DWORD dst_unused:UNUSED_PAD src0_sel:DWORD src1_sel:WORD_1
	v_mul_f16_sdwa v52, v6, v45 dst_sel:DWORD dst_unused:UNUSED_PAD src0_sel:DWORD src1_sel:WORD_1
	;; [unrolled: 1-line block ×4, first 2 shown]
	v_fma_f16 v1, v1, v46, -v49
	v_fma_f16 v6, v6, v45, -v51
	;; [unrolled: 1-line block ×3, first 2 shown]
	v_sub_f16_e32 v51, v15, v17
	v_mul_f16_sdwa v54, v7, v44 dst_sel:DWORD dst_unused:UNUSED_PAD src0_sel:DWORD src1_sel:WORD_1
	v_fma_f16 v20, v20, v45, v52
	v_fma_f16 v7, v7, v44, -v53
	v_fma_f16 v48, v48, v42, v58
	v_sub_f16_e32 v1, v2, v1
	v_fma_f16 v53, v15, 2.0, -v51
	v_sub_f16_e32 v15, v0, v49
	v_mul_f16_sdwa v55, v40, v43 dst_sel:DWORD dst_unused:UNUSED_PAD src0_sel:DWORD src1_sel:WORD_1
	v_fma_f16 v22, v22, v44, v54
	v_sub_f16_e32 v52, v19, v20
	v_fma_f16 v2, v2, 2.0, -v1
	v_sub_f16_e32 v20, v47, v48
	v_fma_f16 v17, v0, 2.0, -v15
	v_mul_u32_u24_e32 v0, 26, v23
	v_mul_f16_sdwa v56, v8, v43 dst_sel:DWORD dst_unused:UNUSED_PAD src0_sel:DWORD src1_sel:WORD_1
	v_fma_f16 v8, v8, v43, -v55
	v_sub_f16_e32 v6, v3, v6
	v_sub_f16_e32 v55, v21, v22
	v_fma_f16 v22, v47, 2.0, -v20
	v_add_lshl_u32 v47, v0, v24, 2
	v_pack_b32_f16 v0, v2, v53
	v_pack_b32_f16 v1, v1, v51
	v_fma_f16 v3, v3, 2.0, -v6
	v_fma_f16 v54, v19, 2.0, -v52
	ds_write2_b32 v47, v0, v1 offset1:13
	v_mad_legacy_u16 v0, v25, 26, v26
	v_sub_f16_e32 v7, v4, v7
	v_lshlrev_b32_e32 v48, 2, v0
	v_pack_b32_f16 v0, v3, v54
	v_pack_b32_f16 v1, v6, v52
	v_mul_f16_sdwa v60, v18, v41 dst_sel:DWORD dst_unused:UNUSED_PAD src0_sel:DWORD src1_sel:WORD_1
	v_fma_f16 v40, v40, v43, v56
	v_fma_f16 v4, v4, 2.0, -v7
	v_fma_f16 v56, v21, 2.0, -v55
	ds_write2_b32 v48, v0, v1 offset1:13
	v_mad_legacy_u16 v0, v27, 26, v11
	v_mul_f16_sdwa v59, v14, v41 dst_sel:DWORD dst_unused:UNUSED_PAD src0_sel:DWORD src1_sel:WORD_1
	v_fma_f16 v50, v14, v41, v60
	v_sub_f16_e32 v14, v5, v8
	v_sub_f16_e32 v19, v37, v40
	v_lshlrev_b32_e32 v49, 2, v0
	v_pack_b32_f16 v0, v4, v56
	v_pack_b32_f16 v1, v7, v55
	v_fma_f16 v8, v5, 2.0, -v14
	v_fma_f16 v9, v37, 2.0, -v19
	ds_write2_b32 v49, v0, v1 offset1:13
	v_mad_legacy_u16 v0, v28, 26, v29
	v_fma_f16 v18, v18, v41, -v59
	v_sub_f16_e32 v21, v13, v50
	v_lshlrev_b32_e32 v50, 2, v0
	v_pack_b32_f16 v0, v8, v9
	v_pack_b32_f16 v1, v14, v19
	v_sub_f16_e32 v18, v12, v18
	ds_write2_b32 v50, v0, v1 offset1:13
	v_mad_legacy_u16 v0, v30, 26, v36
	v_fma_f16 v12, v12, 2.0, -v18
	v_fma_f16 v13, v13, 2.0, -v21
	v_lshlrev_b32_e32 v51, 2, v0
	v_pack_b32_f16 v0, v17, v22
	v_pack_b32_f16 v1, v15, v20
	ds_write2_b32 v51, v0, v1 offset1:13
	s_and_saveexec_b64 s[4:5], s[2:3]
	s_cbranch_execz .LBB0_11
; %bb.10:
	v_mad_legacy_u16 v0, v38, 26, v39
	s_mov_b32 s16, 0x5040100
	v_lshlrev_b32_e32 v0, 2, v0
	v_perm_b32 v1, v13, v12, s16
	v_perm_b32 v2, v21, v18, s16
	ds_write2_b32 v0, v1, v2 offset1:13
.LBB0_11:
	s_or_b64 exec, exec, s[4:5]
	s_waitcnt lgkmcnt(0)
	s_barrier
	ds_read_b32 v11, v31
	ds_read_b32 v27, v31 offset:1144
	ds_read_b32 v26, v31 offset:2288
	;; [unrolled: 1-line block ×5, first 2 shown]
	s_movk_i32 s4, 0x82
	v_cmp_gt_u16_e64 s[4:5], s4, v32
	s_and_saveexec_b64 s[16:17], s[4:5]
	s_cbranch_execz .LBB0_13
; %bb.12:
	ds_read_b32 v8, v31 offset:624
	ds_read_b32 v14, v31 offset:1768
	;; [unrolled: 1-line block ×6, first 2 shown]
	s_waitcnt lgkmcnt(5)
	v_lshrrev_b32_e32 v9, 16, v8
	s_waitcnt lgkmcnt(4)
	v_lshrrev_b32_e32 v19, 16, v14
	s_waitcnt lgkmcnt(3)
	v_lshrrev_b32_e32 v22, 16, v17
	s_waitcnt lgkmcnt(2)
	v_lshrrev_b32_e32 v20, 16, v15
	s_waitcnt lgkmcnt(1)
	v_lshrrev_b32_e32 v13, 16, v12
	s_waitcnt lgkmcnt(0)
	v_lshrrev_b32_e32 v21, 16, v18
.LBB0_13:
	s_or_b64 exec, exec, s[16:17]
	v_mul_u32_u24_e32 v0, 0x4ec5, v10
	v_lshrrev_b32_e32 v36, 19, v0
	v_mul_lo_u16_e32 v0, 26, v36
	v_sub_u16_e32 v37, v10, v0
	v_mul_lo_u16_e32 v0, 20, v37
	v_mov_b32_e32 v1, s15
	v_add_co_u32_e32 v4, vcc, s14, v0
	v_addc_co_u32_e32 v5, vcc, 0, v1, vcc
	s_movk_i32 s16, 0x4f
	global_load_dwordx4 v[0:3], v[4:5], off offset:52
	global_load_dword v40, v[4:5], off offset:68
	v_mul_lo_u16_sdwa v4, v32, s16 dst_sel:DWORD dst_unused:UNUSED_PAD src0_sel:BYTE_0 src1_sel:DWORD
	v_lshrrev_b16_e32 v53, 11, v4
	v_mul_lo_u16_e32 v4, 26, v53
	v_sub_u16_e32 v4, v32, v4
	v_and_b32_e32 v58, 0xff, v4
	v_mad_u64_u32 v[28:29], s[16:17], v58, 20, s[14:15]
	global_load_dwordx4 v[4:7], v[28:29], off offset:52
	global_load_dword v52, v[28:29], off offset:68
	s_waitcnt lgkmcnt(4)
	v_lshrrev_b32_e32 v30, 16, v27
	s_waitcnt lgkmcnt(2)
	v_lshrrev_b32_e32 v55, 16, v25
	s_waitcnt lgkmcnt(0)
	v_lshrrev_b32_e32 v57, 16, v23
	v_lshrrev_b32_e32 v54, 16, v26
	v_lshrrev_b32_e32 v56, 16, v24
	;; [unrolled: 1-line block ×3, first 2 shown]
	s_movk_i32 s16, 0x3aee
	s_mov_b32 s17, 0xbaee
	v_mul_u32_u24_e32 v53, 0x9c, v53
	v_add_lshl_u32 v53, v53, v58, 2
	s_waitcnt vmcnt(0)
	s_barrier
	s_movk_i32 s18, 0x9c
	v_mul_f16_sdwa v10, v19, v0 dst_sel:DWORD dst_unused:UNUSED_PAD src0_sel:DWORD src1_sel:WORD_1
	v_mul_f16_sdwa v28, v14, v0 dst_sel:DWORD dst_unused:UNUSED_PAD src0_sel:DWORD src1_sel:WORD_1
	v_mul_f16_sdwa v59, v22, v1 dst_sel:DWORD dst_unused:UNUSED_PAD src0_sel:DWORD src1_sel:WORD_1
	v_mul_f16_sdwa v60, v17, v1 dst_sel:DWORD dst_unused:UNUSED_PAD src0_sel:DWORD src1_sel:WORD_1
	v_mul_f16_sdwa v61, v20, v2 dst_sel:DWORD dst_unused:UNUSED_PAD src0_sel:DWORD src1_sel:WORD_1
	v_mul_f16_sdwa v62, v15, v2 dst_sel:DWORD dst_unused:UNUSED_PAD src0_sel:DWORD src1_sel:WORD_1
	v_mul_f16_sdwa v64, v12, v3 dst_sel:DWORD dst_unused:UNUSED_PAD src0_sel:DWORD src1_sel:WORD_1
	v_mul_f16_sdwa v65, v21, v40 dst_sel:DWORD dst_unused:UNUSED_PAD src0_sel:DWORD src1_sel:WORD_1
	v_mul_f16_sdwa v63, v13, v3 dst_sel:DWORD dst_unused:UNUSED_PAD src0_sel:DWORD src1_sel:WORD_1
	v_mul_f16_sdwa v66, v18, v40 dst_sel:DWORD dst_unused:UNUSED_PAD src0_sel:DWORD src1_sel:WORD_1
	v_fma_f16 v10, v14, v0, -v10
	v_fma_f16 v19, v19, v0, v28
	v_fma_f16 v14, v17, v1, -v59
	v_fma_f16 v17, v22, v1, v60
	;; [unrolled: 2-line block ×3, first 2 shown]
	v_fma_f16 v28, v13, v3, v64
	v_fma_f16 v13, v18, v40, -v65
	v_mul_f16_sdwa v20, v30, v4 dst_sel:DWORD dst_unused:UNUSED_PAD src0_sel:DWORD src1_sel:WORD_1
	v_mul_f16_sdwa v60, v26, v5 dst_sel:DWORD dst_unused:UNUSED_PAD src0_sel:DWORD src1_sel:WORD_1
	v_mul_f16_sdwa v61, v55, v6 dst_sel:DWORD dst_unused:UNUSED_PAD src0_sel:DWORD src1_sel:WORD_1
	v_mul_f16_sdwa v64, v24, v7 dst_sel:DWORD dst_unused:UNUSED_PAD src0_sel:DWORD src1_sel:WORD_1
	v_mul_f16_sdwa v65, v57, v52 dst_sel:DWORD dst_unused:UNUSED_PAD src0_sel:DWORD src1_sel:WORD_1
	v_fma_f16 v12, v12, v3, -v63
	v_fma_f16 v18, v21, v40, v66
	v_mul_f16_sdwa v21, v27, v4 dst_sel:DWORD dst_unused:UNUSED_PAD src0_sel:DWORD src1_sel:WORD_1
	v_mul_f16_sdwa v59, v54, v5 dst_sel:DWORD dst_unused:UNUSED_PAD src0_sel:DWORD src1_sel:WORD_1
	;; [unrolled: 1-line block ×5, first 2 shown]
	v_fma_f16 v20, v27, v4, -v20
	v_fma_f16 v27, v54, v5, v60
	v_fma_f16 v25, v25, v6, -v61
	v_fma_f16 v54, v56, v7, v64
	v_fma_f16 v23, v23, v52, -v65
	v_fma_f16 v21, v30, v4, v21
	v_fma_f16 v26, v26, v5, -v59
	v_fma_f16 v30, v55, v6, v62
	v_fma_f16 v24, v24, v7, -v63
	v_fma_f16 v55, v57, v52, v66
	v_sub_f16_e32 v59, v27, v54
	v_add_f16_e32 v60, v29, v27
	v_add_f16_e32 v27, v27, v54
	v_add_f16_e32 v62, v25, v23
	v_add_f16_e32 v56, v11, v26
	v_add_f16_e32 v57, v26, v24
	v_sub_f16_e32 v26, v26, v24
	v_add_f16_e32 v61, v20, v25
	v_sub_f16_e32 v63, v30, v55
	v_add_f16_e32 v64, v21, v30
	v_add_f16_e32 v30, v30, v55
	v_fma_f16 v27, v27, -0.5, v29
	v_fma_f16 v20, v62, -0.5, v20
	v_add_f16_e32 v24, v56, v24
	v_add_f16_e32 v29, v61, v23
	v_fma_f16 v21, v30, -0.5, v21
	v_fma_f16 v56, v26, s17, v27
	v_fma_f16 v26, v26, s16, v27
	;; [unrolled: 1-line block ×4, first 2 shown]
	v_sub_f16_e32 v23, v25, v23
	v_fma_f16 v11, v57, -0.5, v11
	v_fma_f16 v25, v23, s17, v21
	v_fma_f16 v21, v23, s16, v21
	v_mul_f16_e32 v57, -0.5, v20
	v_fma_f16 v57, v21, s16, v57
	v_mul_f16_e32 v21, -0.5, v21
	v_mul_f16_e32 v23, 0x3aee, v25
	v_fma_f16 v20, v20, s17, v21
	v_add_f16_e32 v55, v64, v55
	v_fma_f16 v23, v27, 0.5, v23
	v_mul_f16_e32 v27, 0xbaee, v27
	v_add_f16_e32 v64, v26, v20
	v_sub_f16_e32 v70, v26, v20
	v_add_f16_e32 v20, v17, v28
	v_fma_f16 v25, v25, 0.5, v27
	v_fma_f16 v26, v20, -0.5, v9
	v_add_f16_e32 v20, v15, v13
	v_add_f16_e32 v54, v60, v54
	v_fma_f16 v30, v59, s16, v11
	v_fma_f16 v11, v59, s17, v11
	v_add_f16_e32 v59, v24, v29
	v_add_f16_e32 v63, v56, v25
	v_sub_f16_e32 v65, v24, v29
	v_sub_f16_e32 v69, v56, v25
	v_fma_f16 v29, v20, -0.5, v10
	v_sub_f16_e32 v56, v22, v18
	v_add_f16_e32 v24, v22, v18
	v_add_f16_e32 v61, v11, v57
	v_add_f16_e32 v62, v54, v55
	v_sub_f16_e32 v67, v11, v57
	v_sub_f16_e32 v68, v54, v55
	v_fma_f16 v20, v56, s17, v29
	v_fma_f16 v55, v24, -0.5, v19
	v_sub_f16_e32 v57, v15, v13
	v_add_f16_e32 v60, v30, v23
	v_add_f16_e32 v11, v14, v12
	v_fma_f16 v25, v57, s16, v55
	v_mul_f16_e32 v24, -0.5, v20
	v_sub_f16_e32 v66, v30, v23
	v_fma_f16 v23, v11, -0.5, v8
	v_sub_f16_e32 v27, v17, v28
	v_sub_f16_e32 v30, v14, v12
	v_fma_f16 v24, v25, s16, v24
	v_mul_f16_e32 v25, -0.5, v25
	v_pack_b32_f16 v58, v59, v62
	v_pack_b32_f16 v59, v60, v63
	v_fma_f16 v11, v27, s17, v23
	v_fma_f16 v21, v30, s16, v26
	;; [unrolled: 1-line block ×3, first 2 shown]
	ds_write2_b32 v53, v58, v59 offset1:26
	v_pack_b32_f16 v58, v61, v64
	v_pack_b32_f16 v59, v65, v68
	v_sub_f16_e32 v20, v11, v24
	v_sub_f16_e32 v54, v21, v25
	ds_write2_b32 v53, v58, v59 offset0:52 offset1:78
	v_pack_b32_f16 v58, v66, v69
	v_pack_b32_f16 v59, v67, v70
	ds_write2_b32 v53, v58, v59 offset0:104 offset1:130
	s_and_saveexec_b64 s[16:17], s[4:5]
	s_cbranch_execz .LBB0_15
; %bb.14:
	v_mul_f16_e32 v30, 0x3aee, v30
	v_mul_f16_e32 v56, 0x3aee, v56
	;; [unrolled: 1-line block ×3, first 2 shown]
	v_sub_f16_e32 v26, v26, v30
	v_sub_f16_e32 v30, v55, v57
	v_add_f16_e32 v29, v56, v29
	v_mul_f16_e32 v27, 0x3aee, v27
	v_mul_f16_e32 v55, 0x3aee, v29
	v_add_f16_e32 v9, v9, v17
	v_add_f16_e32 v17, v19, v22
	v_mul_f16_e32 v22, 0x3aee, v30
	v_add_f16_e32 v8, v8, v14
	v_add_f16_e32 v10, v10, v15
	v_fma_f16 v55, v30, 0.5, -v55
	v_add_f16_e32 v9, v9, v28
	v_add_f16_e32 v17, v17, v18
	;; [unrolled: 1-line block ×3, first 2 shown]
	v_fma_f16 v22, v29, 0.5, v22
	v_add_f16_e32 v8, v8, v12
	v_add_f16_e32 v10, v10, v13
	v_sub_f16_e32 v18, v9, v17
	v_sub_f16_e32 v12, v8, v10
	v_add_f16_e32 v14, v26, v55
	v_add_f16_e32 v9, v9, v17
	;; [unrolled: 1-line block ×4, first 2 shown]
	v_mad_legacy_u16 v10, v36, s18, v37
	v_add_f16_e32 v13, v21, v25
	v_add_f16_e32 v11, v11, v24
	v_lshlrev_b32_e32 v10, 2, v10
	v_pack_b32_f16 v8, v8, v9
	v_pack_b32_f16 v9, v15, v14
	v_sub_f16_e32 v56, v26, v55
	v_sub_f16_e32 v23, v19, v22
	ds_write2_b32 v10, v8, v9 offset1:26
	v_pack_b32_f16 v8, v11, v13
	v_pack_b32_f16 v9, v12, v18
	s_mov_b32 s18, 0x5040100
	ds_write2_b32 v10, v8, v9 offset0:52 offset1:78
	v_pack_b32_f16 v8, v23, v56
	v_perm_b32 v9, v54, v20, s18
	ds_write2_b32 v10, v8, v9 offset0:104 offset1:130
.LBB0_15:
	s_or_b64 exec, exec, s[16:17]
	v_mad_u64_u32 v[21:22], s[14:15], v32, 40, s[14:15]
	s_waitcnt lgkmcnt(0)
	s_barrier
	global_load_dwordx4 v[8:11], v[21:22], off offset:572
	global_load_dwordx4 v[12:15], v[21:22], off offset:588
	global_load_dwordx2 v[17:18], v[21:22], off offset:604
	ds_read2_b32 v[22:23], v31 offset1:156
	v_add_u32_e32 v66, 0x400, v31
	v_add_u32_e32 v28, 0x1000, v31
	ds_read_b32 v19, v31 offset:2496
	v_add_u32_e32 v21, 0xc00, v31
	v_add_u32_e32 v30, 0x1500, v31
	ds_read2_b32 v[24:25], v66 offset0:56 offset1:212
	ds_read2_b32 v[26:27], v21 offset0:12 offset1:168
	;; [unrolled: 1-line block ×4, first 2 shown]
	s_waitcnt lgkmcnt(5)
	v_lshrrev_b32_e32 v21, 16, v23
	s_waitcnt lgkmcnt(3)
	v_lshrrev_b32_e32 v57, 16, v24
	v_lshrrev_b32_e32 v58, 16, v25
	;; [unrolled: 1-line block ×3, first 2 shown]
	s_waitcnt lgkmcnt(0)
	v_lshrrev_b32_e32 v63, 16, v55
	v_lshrrev_b32_e32 v64, 16, v56
	;; [unrolled: 1-line block ×6, first 2 shown]
	s_movk_i32 s14, 0x3abb
	s_movk_i32 s15, 0x36a6
	s_mov_b32 s16, 0xb08e
	s_mov_b32 s17, 0xb93d
	;; [unrolled: 1-line block ×3, first 2 shown]
	s_waitcnt vmcnt(2)
	v_mul_f16_sdwa v65, v21, v8 dst_sel:DWORD dst_unused:UNUSED_PAD src0_sel:DWORD src1_sel:WORD_1
	v_mul_f16_sdwa v67, v23, v8 dst_sel:DWORD dst_unused:UNUSED_PAD src0_sel:DWORD src1_sel:WORD_1
	;; [unrolled: 1-line block ×4, first 2 shown]
	s_waitcnt vmcnt(0)
	v_mul_f16_sdwa v82, v63, v17 dst_sel:DWORD dst_unused:UNUSED_PAD src0_sel:DWORD src1_sel:WORD_1
	v_mul_f16_sdwa v84, v64, v18 dst_sel:DWORD dst_unused:UNUSED_PAD src0_sel:DWORD src1_sel:WORD_1
	;; [unrolled: 1-line block ×3, first 2 shown]
	v_fma_f16 v23, v23, v8, -v65
	v_fma_f16 v21, v21, v8, v67
	v_mul_f16_sdwa v70, v58, v10 dst_sel:DWORD dst_unused:UNUSED_PAD src0_sel:DWORD src1_sel:WORD_1
	v_mul_f16_sdwa v71, v25, v10 dst_sel:DWORD dst_unused:UNUSED_PAD src0_sel:DWORD src1_sel:WORD_1
	;; [unrolled: 1-line block ×3, first 2 shown]
	v_fma_f16 v24, v24, v9, -v68
	v_fma_f16 v57, v57, v9, v69
	v_fma_f16 v65, v55, v17, -v82
	v_fma_f16 v55, v56, v18, -v84
	v_fma_f16 v56, v64, v18, v85
	v_add_f16_e32 v64, v22, v23
	v_add_f16_sdwa v67, v22, v21 dst_sel:DWORD dst_unused:UNUSED_PAD src0_sel:WORD_1 src1_sel:DWORD
	v_mul_f16_sdwa v72, v30, v11 dst_sel:DWORD dst_unused:UNUSED_PAD src0_sel:DWORD src1_sel:WORD_1
	v_mul_f16_sdwa v73, v19, v11 dst_sel:DWORD dst_unused:UNUSED_PAD src0_sel:DWORD src1_sel:WORD_1
	v_fma_f16 v25, v25, v10, -v70
	v_fma_f16 v58, v58, v10, v71
	v_add_f16_e32 v69, v21, v56
	v_sub_f16_e32 v70, v21, v56
	v_add_f16_e32 v21, v64, v24
	v_add_f16_e32 v64, v67, v57
	v_mul_f16_sdwa v74, v59, v12 dst_sel:DWORD dst_unused:UNUSED_PAD src0_sel:DWORD src1_sel:WORD_1
	v_mul_f16_sdwa v75, v26, v12 dst_sel:DWORD dst_unused:UNUSED_PAD src0_sel:DWORD src1_sel:WORD_1
	v_fma_f16 v19, v19, v11, -v72
	v_fma_f16 v30, v30, v11, v73
	v_add_f16_e32 v21, v21, v25
	v_add_f16_e32 v64, v64, v58
	v_mul_f16_sdwa v76, v60, v13 dst_sel:DWORD dst_unused:UNUSED_PAD src0_sel:DWORD src1_sel:WORD_1
	v_mul_f16_sdwa v77, v27, v13 dst_sel:DWORD dst_unused:UNUSED_PAD src0_sel:DWORD src1_sel:WORD_1
	v_fma_f16 v26, v26, v12, -v74
	v_fma_f16 v59, v59, v12, v75
	;; [unrolled: 6-line block ×4, first 2 shown]
	v_add_f16_e32 v21, v21, v27
	v_add_f16_e32 v64, v64, v60
	v_fma_f16 v29, v29, v15, -v80
	v_fma_f16 v62, v62, v15, v81
	v_add_f16_e32 v21, v21, v28
	v_add_f16_e32 v64, v64, v61
	v_fma_f16 v63, v63, v17, v83
	v_add_f16_e32 v21, v21, v29
	v_add_f16_e32 v64, v64, v62
	v_add_f16_e32 v68, v23, v55
	v_sub_f16_e32 v23, v23, v55
	v_add_f16_e32 v21, v21, v65
	v_add_f16_e32 v64, v64, v63
	v_mul_f16_e32 v67, 0xb853, v70
	v_add_f16_e32 v21, v21, v55
	v_add_f16_e32 v55, v64, v56
	v_mul_f16_e32 v56, 0xb853, v23
	v_mul_f16_e32 v72, 0xbb47, v70
	v_mul_f16_e32 v74, 0xbb47, v23
	v_mul_f16_e32 v76, 0xbbeb, v70
	v_mul_f16_e32 v78, 0xbbeb, v23
	v_mul_f16_e32 v80, 0xba0c, v70
	v_mul_f16_e32 v82, 0xba0c, v23
	v_mul_f16_e32 v70, 0xb482, v70
	v_mul_f16_e32 v23, 0xb482, v23
	v_fma_f16 v71, v68, s14, -v67
	v_fma_f16 v64, v69, s14, v56
	v_fma_f16 v67, v68, s14, v67
	v_fma_f16 v56, v69, s14, -v56
	v_fma_f16 v73, v68, s15, -v72
	v_fma_f16 v75, v69, s15, v74
	v_fma_f16 v72, v68, s15, v72
	v_fma_f16 v74, v69, s15, -v74
	;; [unrolled: 4-line block ×5, first 2 shown]
	v_add_f16_e32 v69, v57, v63
	v_sub_f16_e32 v57, v57, v63
	v_add_f16_e32 v71, v22, v71
	v_add_f16_sdwa v64, v22, v64 dst_sel:DWORD dst_unused:UNUSED_PAD src0_sel:WORD_1 src1_sel:DWORD
	v_add_f16_e32 v67, v22, v67
	v_add_f16_sdwa v56, v22, v56 dst_sel:DWORD dst_unused:UNUSED_PAD src0_sel:WORD_1 src1_sel:DWORD
	;; [unrolled: 2-line block ×10, first 2 shown]
	v_add_f16_e32 v23, v24, v65
	v_sub_f16_e32 v24, v24, v65
	v_mul_f16_e32 v63, 0xbb47, v57
	v_fma_f16 v65, v23, s15, -v63
	v_mul_f16_e32 v70, 0xbb47, v24
	v_fma_f16 v63, v23, s15, v63
	v_add_f16_e32 v63, v63, v67
	v_fma_f16 v67, v69, s15, -v70
	v_add_f16_e32 v65, v65, v71
	v_fma_f16 v71, v69, s15, v70
	v_add_f16_e32 v56, v67, v56
	v_mul_f16_e32 v67, 0xba0c, v57
	v_add_f16_e32 v64, v71, v64
	v_fma_f16 v70, v23, s17, -v67
	v_mul_f16_e32 v71, 0xba0c, v24
	v_fma_f16 v67, v23, s17, v67
	v_add_f16_e32 v70, v70, v73
	v_fma_f16 v73, v69, s17, v71
	v_add_f16_e32 v67, v67, v72
	v_fma_f16 v71, v69, s17, -v71
	v_mul_f16_e32 v72, 0x3482, v57
	v_add_f16_e32 v73, v73, v75
	v_add_f16_e32 v71, v71, v74
	v_fma_f16 v74, v23, s18, -v72
	v_mul_f16_e32 v75, 0x3482, v24
	v_fma_f16 v72, v23, s18, v72
	v_add_f16_e32 v74, v74, v77
	v_fma_f16 v77, v69, s18, v75
	v_add_f16_e32 v72, v72, v76
	v_fma_f16 v75, v69, s18, -v75
	v_mul_f16_e32 v76, 0x3beb, v57
	v_add_f16_e32 v77, v77, v79
	v_add_f16_e32 v75, v75, v78
	v_fma_f16 v78, v23, s16, -v76
	v_mul_f16_e32 v79, 0x3beb, v24
	v_add_f16_e32 v78, v78, v81
	v_fma_f16 v81, v69, s16, v79
	v_fma_f16 v79, v69, s16, -v79
	v_mul_f16_e32 v24, 0x3853, v24
	v_add_f16_e32 v79, v79, v82
	v_fma_f16 v82, v69, s14, v24
	v_fma_f16 v24, v69, s14, -v24
	v_fma_f16 v76, v23, s16, v76
	v_mul_f16_e32 v57, 0x3853, v57
	v_add_f16_e32 v22, v24, v22
	v_add_f16_e32 v24, v25, v29
	v_sub_f16_e32 v25, v25, v29
	v_sub_f16_e32 v29, v58, v62
	v_add_f16_e32 v76, v76, v80
	v_fma_f16 v80, v23, s14, -v57
	v_fma_f16 v23, v23, s14, v57
	v_add_f16_e32 v57, v58, v62
	v_mul_f16_e32 v58, 0xbbeb, v29
	v_fma_f16 v62, v24, s16, -v58
	v_add_f16_e32 v62, v62, v65
	v_mul_f16_e32 v65, 0xbbeb, v25
	v_fma_f16 v58, v24, s16, v58
	v_add_f16_e32 v58, v58, v63
	v_fma_f16 v63, v57, s16, -v65
	v_add_f16_e32 v23, v23, v68
	v_fma_f16 v68, v57, s16, v65
	v_add_f16_e32 v56, v63, v56
	v_mul_f16_e32 v63, 0x3482, v29
	v_add_f16_e32 v64, v68, v64
	v_fma_f16 v65, v24, s18, -v63
	v_mul_f16_e32 v68, 0x3482, v25
	v_fma_f16 v63, v24, s18, v63
	v_fma_f16 v69, v57, s18, v68
	v_add_f16_e32 v63, v63, v67
	v_fma_f16 v67, v57, s18, -v68
	v_mul_f16_e32 v68, 0x3b47, v29
	v_add_f16_e32 v65, v65, v70
	v_fma_f16 v70, v24, s15, -v68
	v_fma_f16 v68, v24, s15, v68
	v_add_f16_e32 v67, v67, v71
	v_mul_f16_e32 v71, 0x3b47, v25
	v_add_f16_e32 v68, v68, v72
	v_mul_f16_e32 v72, 0xb853, v29
	v_add_f16_e32 v69, v69, v73
	v_add_f16_e32 v70, v70, v74
	v_fma_f16 v73, v57, s15, v71
	v_fma_f16 v71, v57, s15, -v71
	v_fma_f16 v74, v24, s14, -v72
	v_fma_f16 v72, v24, s14, v72
	v_mul_f16_e32 v29, 0xba0c, v29
	v_add_f16_e32 v71, v71, v75
	v_mul_f16_e32 v75, 0xb853, v25
	v_add_f16_e32 v72, v72, v76
	v_fma_f16 v76, v24, s17, -v29
	v_mul_f16_e32 v25, 0xba0c, v25
	v_fma_f16 v24, v24, s17, v29
	v_add_f16_e32 v23, v24, v23
	v_fma_f16 v24, v57, s17, -v25
	v_add_f16_e32 v22, v24, v22
	v_add_f16_e32 v24, v19, v28
	v_sub_f16_e32 v19, v19, v28
	v_add_f16_e32 v73, v73, v77
	v_add_f16_e32 v74, v74, v78
	v_fma_f16 v77, v57, s14, v75
	v_fma_f16 v75, v57, s14, -v75
	v_fma_f16 v78, v57, s17, v25
	v_add_f16_e32 v25, v30, v61
	v_sub_f16_e32 v28, v30, v61
	v_mul_f16_e32 v57, 0xba0c, v19
	v_mul_f16_e32 v29, 0xba0c, v28
	v_fma_f16 v61, v25, s17, v57
	v_fma_f16 v57, v25, s17, -v57
	v_fma_f16 v30, v24, s17, -v29
	v_fma_f16 v29, v24, s17, v29
	v_add_f16_e32 v57, v57, v56
	v_mul_f16_e32 v56, 0x3beb, v28
	v_add_f16_e32 v30, v30, v62
	v_add_f16_e32 v29, v29, v58
	v_fma_f16 v58, v24, s16, -v56
	v_mul_f16_e32 v62, 0x3beb, v19
	v_fma_f16 v56, v24, s16, v56
	v_add_f16_e32 v63, v56, v63
	v_fma_f16 v56, v25, s16, -v62
	v_add_f16_e32 v61, v61, v64
	v_fma_f16 v64, v25, s16, v62
	v_add_f16_e32 v62, v56, v67
	v_mul_f16_e32 v56, 0xb853, v28
	v_add_f16_e32 v58, v58, v65
	v_fma_f16 v65, v24, s14, -v56
	v_mul_f16_e32 v67, 0xb853, v19
	v_fma_f16 v56, v24, s14, v56
	v_add_f16_e32 v68, v56, v68
	v_fma_f16 v56, v25, s14, -v67
	v_add_f16_e32 v64, v64, v69
	v_fma_f16 v69, v25, s14, v67
	v_add_f16_e32 v67, v56, v71
	v_mul_f16_e32 v56, 0xb482, v28
	v_add_f16_e32 v65, v65, v70
	v_fma_f16 v70, v24, s18, -v56
	v_mul_f16_e32 v71, 0xb482, v19
	v_fma_f16 v56, v24, s18, v56
	v_add_f16_e32 v80, v80, v84
	v_add_f16_e32 v75, v75, v79
	;; [unrolled: 1-line block ×3, first 2 shown]
	v_fma_f16 v56, v25, s18, -v71
	v_mul_f16_e32 v28, 0x3b47, v28
	v_add_f16_e32 v82, v82, v85
	v_add_f16_e32 v76, v76, v80
	;; [unrolled: 1-line block ×3, first 2 shown]
	v_fma_f16 v73, v25, s18, v71
	v_add_f16_e32 v71, v56, v75
	v_fma_f16 v56, v24, s15, -v28
	v_mul_f16_e32 v19, 0x3b47, v19
	v_fma_f16 v24, v24, s15, v28
	v_sub_f16_e32 v80, v26, v27
	v_add_f16_e32 v81, v81, v83
	v_add_f16_e32 v78, v78, v82
	;; [unrolled: 1-line block ×4, first 2 shown]
	v_fma_f16 v56, v25, s15, v19
	v_add_f16_e32 v76, v24, v23
	v_add_f16_e32 v79, v59, v60
	v_mul_f16_e32 v23, 0xb482, v80
	v_add_f16_e32 v77, v77, v81
	v_add_f16_e32 v75, v56, v78
	v_fma_f16 v19, v25, s15, -v19
	v_add_f16_e32 v78, v26, v27
	v_sub_f16_e32 v26, v59, v60
	v_fma_f16 v24, v79, s18, v23
	v_add_f16_e32 v73, v73, v77
	v_add_f16_e32 v77, v19, v22
	v_mul_f16_e32 v19, 0xb482, v26
	v_add_f16_e32 v56, v24, v61
	v_fma_f16 v23, v79, s18, -v23
	v_mul_f16_e32 v24, 0x3853, v26
	v_fma_f16 v22, v78, s18, -v19
	v_fma_f16 v19, v78, s18, v19
	v_add_f16_e32 v59, v23, v57
	v_fma_f16 v23, v78, s14, -v24
	v_mul_f16_e32 v25, 0x3853, v80
	v_fma_f16 v24, v78, s14, v24
	v_add_f16_e32 v19, v19, v29
	v_fma_f16 v27, v79, s14, v25
	v_add_f16_e32 v28, v24, v63
	v_fma_f16 v24, v79, s14, -v25
	v_mul_f16_e32 v25, 0xba0c, v26
	v_mul_f16_e32 v29, 0xba0c, v80
	v_add_f16_e32 v57, v27, v64
	v_add_f16_e32 v61, v24, v62
	v_fma_f16 v24, v78, s17, -v25
	v_fma_f16 v27, v79, s17, v29
	v_fma_f16 v25, v78, s17, v25
	v_add_f16_e32 v23, v23, v58
	v_add_f16_e32 v58, v27, v69
	;; [unrolled: 1-line block ×3, first 2 shown]
	v_fma_f16 v25, v79, s17, -v29
	v_mul_f16_e32 v29, 0x3b47, v26
	v_mul_f16_e32 v62, 0x3b47, v80
	v_add_f16_e32 v22, v22, v30
	v_add_f16_e32 v64, v25, v67
	v_fma_f16 v25, v78, s15, -v29
	v_fma_f16 v30, v79, s15, v62
	v_fma_f16 v29, v78, s15, v29
	v_add_f16_e32 v60, v30, v73
	v_add_f16_e32 v30, v29, v72
	v_fma_f16 v29, v79, s15, -v62
	v_add_f16_e32 v24, v24, v65
	v_add_f16_e32 v65, v29, v71
	v_mul_f16_e32 v29, 0xbbeb, v26
	v_mul_f16_e32 v63, 0xbbeb, v80
	v_pack_b32_f16 v67, v21, v55
	v_pack_b32_f16 v68, v22, v56
	v_add_f16_e32 v25, v25, v70
	v_fma_f16 v26, v78, s16, -v29
	v_fma_f16 v62, v79, s16, v63
	ds_write2_b32 v31, v67, v68 offset1:156
	v_pack_b32_f16 v67, v23, v57
	v_pack_b32_f16 v68, v24, v58
	v_add_f16_e32 v26, v26, v74
	v_add_f16_e32 v62, v62, v75
	v_fma_f16 v29, v78, s16, v29
	v_fma_f16 v63, v79, s16, -v63
	ds_write2_b32 v66, v67, v68 offset0:56 offset1:212
	v_pack_b32_f16 v66, v25, v60
	v_add_f16_e32 v29, v29, v76
	v_add_f16_e32 v63, v63, v77
	ds_write_b32 v31, v66 offset:2496
	v_pack_b32_f16 v66, v26, v62
	ds_write_b32 v31, v66 offset:3120
	v_pack_b32_f16 v66, v29, v63
	v_pack_b32_f16 v68, v30, v65
	v_add_u32_e32 v67, 0xe00, v31
	ds_write2_b32 v67, v66, v68 offset0:40 offset1:196
	v_pack_b32_f16 v68, v27, v64
	v_pack_b32_f16 v69, v28, v61
	v_add_u32_e32 v66, 0x1200, v31
	ds_write2_b32 v66, v68, v69 offset0:96 offset1:252
	v_pack_b32_f16 v68, v19, v59
	ds_write_b32 v31, v68 offset:6240
	s_waitcnt lgkmcnt(0)
	s_barrier
	s_and_saveexec_b64 s[14:15], s[0:1]
	s_cbranch_execz .LBB0_17
; %bb.16:
	v_mov_b32_e32 v68, s7
	v_add_co_u32_e32 v72, vcc, s6, v31
	v_addc_co_u32_e32 v73, vcc, 0, v68, vcc
	v_add_co_u32_e32 v68, vcc, 0x1ad0, v72
	v_addc_co_u32_e32 v69, vcc, 0, v73, vcc
	;; [unrolled: 2-line block ×3, first 2 shown]
	global_load_dword v74, v[70:71], off offset:2768
	global_load_dword v76, v[68:69], off offset:528
	;; [unrolled: 1-line block ×8, first 2 shown]
	s_movk_i32 s16, 0x2000
	v_add_co_u32_e32 v68, vcc, s16, v72
	v_addc_co_u32_e32 v69, vcc, 0, v73, vcc
	global_load_dword v83, v[68:69], off offset:2896
	global_load_dword v84, v[68:69], off offset:3424
	;; [unrolled: 1-line block ×3, first 2 shown]
	s_movk_i32 s16, 0x3000
	v_add_co_u32_e32 v68, vcc, s16, v72
	v_addc_co_u32_e32 v69, vcc, 0, v73, vcc
	ds_read_b32 v70, v31
	global_load_dword v88, v[68:69], off offset:384
	global_load_dword v89, v[68:69], off offset:912
	v_add_u32_e32 v85, 0x200, v31
	v_add_u32_e32 v86, 0x600, v31
	;; [unrolled: 1-line block ×3, first 2 shown]
	s_waitcnt lgkmcnt(0)
	v_lshrrev_b32_e32 v68, 16, v70
	s_waitcnt vmcnt(12)
	v_mul_f16_sdwa v69, v68, v74 dst_sel:DWORD dst_unused:UNUSED_PAD src0_sel:DWORD src1_sel:WORD_1
	v_mul_f16_sdwa v71, v70, v74 dst_sel:DWORD dst_unused:UNUSED_PAD src0_sel:DWORD src1_sel:WORD_1
	v_fma_f16 v69, v70, v74, -v69
	v_fma_f16 v68, v68, v74, v71
	v_pack_b32_f16 v68, v69, v68
	ds_write_b32 v31, v68
	ds_read2_b32 v[68:69], v85 offset0:4 offset1:136
	ds_read2_b32 v[70:71], v86 offset0:12 offset1:144
	ds_read2_b32 v[72:73], v90 offset0:20 offset1:152
	ds_read2_b32 v[74:75], v67 offset0:28 offset1:160
	s_waitcnt lgkmcnt(2)
	v_lshrrev_b32_e32 v95, 16, v70
	v_lshrrev_b32_e32 v91, 16, v68
	s_waitcnt vmcnt(11)
	v_mul_f16_sdwa v92, v68, v76 dst_sel:DWORD dst_unused:UNUSED_PAD src0_sel:DWORD src1_sel:WORD_1
	v_lshrrev_b32_e32 v93, 16, v69
	s_waitcnt vmcnt(10)
	v_mul_f16_sdwa v94, v69, v77 dst_sel:DWORD dst_unused:UNUSED_PAD src0_sel:DWORD src1_sel:WORD_1
	s_waitcnt vmcnt(9)
	v_mul_f16_sdwa v96, v70, v78 dst_sel:DWORD dst_unused:UNUSED_PAD src0_sel:DWORD src1_sel:WORD_1
	v_lshrrev_b32_e32 v97, 16, v71
	s_waitcnt vmcnt(8)
	v_mul_f16_sdwa v98, v71, v79 dst_sel:DWORD dst_unused:UNUSED_PAD src0_sel:DWORD src1_sel:WORD_1
	s_waitcnt lgkmcnt(1)
	v_lshrrev_b32_e32 v99, 16, v72
	s_waitcnt vmcnt(7)
	v_mul_f16_sdwa v100, v72, v80 dst_sel:DWORD dst_unused:UNUSED_PAD src0_sel:DWORD src1_sel:WORD_1
	v_lshrrev_b32_e32 v101, 16, v73
	v_mul_f16_sdwa v105, v91, v76 dst_sel:DWORD dst_unused:UNUSED_PAD src0_sel:DWORD src1_sel:WORD_1
	v_fma_f16 v91, v91, v76, v92
	v_mul_f16_sdwa v92, v93, v77 dst_sel:DWORD dst_unused:UNUSED_PAD src0_sel:DWORD src1_sel:WORD_1
	v_fma_f16 v93, v93, v77, v94
	v_mul_f16_sdwa v94, v95, v78 dst_sel:DWORD dst_unused:UNUSED_PAD src0_sel:DWORD src1_sel:WORD_1
	s_waitcnt vmcnt(6)
	v_mul_f16_sdwa v102, v73, v81 dst_sel:DWORD dst_unused:UNUSED_PAD src0_sel:DWORD src1_sel:WORD_1
	v_fma_f16 v95, v95, v78, v96
	v_mul_f16_sdwa v96, v97, v79 dst_sel:DWORD dst_unused:UNUSED_PAD src0_sel:DWORD src1_sel:WORD_1
	v_fma_f16 v97, v97, v79, v98
	v_mul_f16_sdwa v98, v99, v80 dst_sel:DWORD dst_unused:UNUSED_PAD src0_sel:DWORD src1_sel:WORD_1
	v_fma_f16 v99, v99, v80, v100
	v_mul_f16_sdwa v100, v101, v81 dst_sel:DWORD dst_unused:UNUSED_PAD src0_sel:DWORD src1_sel:WORD_1
	v_fma_f16 v68, v68, v76, -v105
	v_fma_f16 v69, v69, v77, -v92
	;; [unrolled: 1-line block ×3, first 2 shown]
	v_fma_f16 v101, v101, v81, v102
	v_fma_f16 v71, v71, v79, -v96
	v_fma_f16 v72, v72, v80, -v98
	;; [unrolled: 1-line block ×3, first 2 shown]
	v_pack_b32_f16 v68, v68, v91
	v_pack_b32_f16 v69, v69, v93
	;; [unrolled: 1-line block ×6, first 2 shown]
	ds_write2_b32 v85, v68, v69 offset0:4 offset1:136
	ds_write2_b32 v86, v70, v71 offset0:12 offset1:144
	;; [unrolled: 1-line block ×3, first 2 shown]
	s_waitcnt lgkmcnt(3)
	v_lshrrev_b32_e32 v70, 16, v75
	s_waitcnt vmcnt(4)
	v_mul_f16_sdwa v68, v70, v83 dst_sel:DWORD dst_unused:UNUSED_PAD src0_sel:DWORD src1_sel:WORD_1
	v_fma_f16 v71, v75, v83, -v68
	ds_read2_b32 v[68:69], v66 offset0:36 offset1:168
	v_lshrrev_b32_e32 v103, 16, v74
	v_mul_f16_sdwa v104, v74, v82 dst_sel:DWORD dst_unused:UNUSED_PAD src0_sel:DWORD src1_sel:WORD_1
	v_mul_f16_sdwa v102, v103, v82 dst_sel:DWORD dst_unused:UNUSED_PAD src0_sel:DWORD src1_sel:WORD_1
	;; [unrolled: 1-line block ×3, first 2 shown]
	v_fma_f16 v103, v103, v82, v104
	v_fma_f16 v74, v74, v82, -v102
	v_fma_f16 v70, v70, v83, v72
	v_pack_b32_f16 v74, v74, v103
	v_pack_b32_f16 v70, v71, v70
	ds_write2_b32 v67, v74, v70 offset0:28 offset1:160
	s_waitcnt lgkmcnt(1)
	v_lshrrev_b32_e32 v67, 16, v68
	s_waitcnt vmcnt(3)
	v_mul_f16_sdwa v70, v67, v84 dst_sel:DWORD dst_unused:UNUSED_PAD src0_sel:DWORD src1_sel:WORD_1
	v_fma_f16 v70, v68, v84, -v70
	v_mul_f16_sdwa v68, v68, v84 dst_sel:DWORD dst_unused:UNUSED_PAD src0_sel:DWORD src1_sel:WORD_1
	v_fma_f16 v67, v67, v84, v68
	v_lshrrev_b32_e32 v71, 16, v69
	v_pack_b32_f16 v70, v70, v67
	s_waitcnt vmcnt(2)
	v_mul_f16_sdwa v67, v71, v87 dst_sel:DWORD dst_unused:UNUSED_PAD src0_sel:DWORD src1_sel:WORD_1
	v_add_u32_e32 v73, 0x1600, v31
	v_fma_f16 v72, v69, v87, -v67
	ds_read2_b32 v[67:68], v73 offset0:44 offset1:176
	v_mul_f16_sdwa v69, v69, v87 dst_sel:DWORD dst_unused:UNUSED_PAD src0_sel:DWORD src1_sel:WORD_1
	v_fma_f16 v69, v71, v87, v69
	v_pack_b32_f16 v69, v72, v69
	ds_write2_b32 v66, v70, v69 offset0:36 offset1:168
	s_waitcnt lgkmcnt(1)
	v_lshrrev_b32_e32 v66, 16, v67
	s_waitcnt vmcnt(1)
	v_mul_f16_sdwa v69, v66, v88 dst_sel:DWORD dst_unused:UNUSED_PAD src0_sel:DWORD src1_sel:WORD_1
	v_fma_f16 v69, v67, v88, -v69
	v_mul_f16_sdwa v67, v67, v88 dst_sel:DWORD dst_unused:UNUSED_PAD src0_sel:DWORD src1_sel:WORD_1
	v_fma_f16 v66, v66, v88, v67
	v_lshrrev_b32_e32 v67, 16, v68
	v_pack_b32_f16 v66, v69, v66
	s_waitcnt vmcnt(0)
	v_mul_f16_sdwa v69, v67, v89 dst_sel:DWORD dst_unused:UNUSED_PAD src0_sel:DWORD src1_sel:WORD_1
	v_fma_f16 v69, v68, v89, -v69
	v_mul_f16_sdwa v68, v68, v89 dst_sel:DWORD dst_unused:UNUSED_PAD src0_sel:DWORD src1_sel:WORD_1
	v_fma_f16 v67, v67, v89, v68
	v_pack_b32_f16 v67, v69, v67
	ds_write2_b32 v73, v66, v67 offset0:44 offset1:176
.LBB0_17:
	s_or_b64 exec, exec, s[14:15]
	s_waitcnt lgkmcnt(0)
	s_barrier
	s_and_saveexec_b64 s[14:15], s[0:1]
	s_cbranch_execz .LBB0_19
; %bb.18:
	v_add_u32_e32 v19, 0x400, v31
	ds_read2_b32 v[23:24], v19 offset0:8 offset1:140
	v_add_u32_e32 v19, 0xc00, v31
	ds_read2_b32 v[29:30], v19 offset0:24 offset1:156
	v_add_u32_e32 v19, 0x1000, v31
	v_add_u32_e32 v20, 0x800, v31
	ds_read2_b32 v[27:28], v19 offset0:32 offset1:164
	v_add_u32_e32 v19, 0x1400, v31
	ds_read2_b32 v[21:22], v31 offset1:132
	ds_read2_b32 v[25:26], v20 offset0:16 offset1:148
	ds_read2_b32 v[19:20], v19 offset0:40 offset1:172
	ds_read_b32 v34, v31 offset:6336
	s_waitcnt lgkmcnt(6)
	v_lshrrev_b32_e32 v57, 16, v23
	s_waitcnt lgkmcnt(3)
	v_lshrrev_b32_e32 v55, 16, v21
	v_lshrrev_b32_e32 v56, 16, v22
	;; [unrolled: 1-line block ×3, first 2 shown]
	s_waitcnt lgkmcnt(2)
	v_lshrrev_b32_e32 v60, 16, v25
	v_lshrrev_b32_e32 v62, 16, v26
	;; [unrolled: 1-line block ×6, first 2 shown]
	s_waitcnt lgkmcnt(1)
	v_lshrrev_b32_e32 v59, 16, v19
	v_lshrrev_b32_e32 v54, 16, v20
	s_waitcnt lgkmcnt(0)
	v_lshrrev_b32_e32 v35, 16, v34
.LBB0_19:
	s_or_b64 exec, exec, s[14:15]
	v_sub_f16_e32 v77, v56, v35
	v_add_f16_e32 v70, v34, v22
	v_add_f16_e32 v80, v35, v56
	s_movk_i32 s16, 0x388b
	v_mul_f16_e32 v84, 0xba95, v77
	v_sub_f16_e32 v81, v57, v54
	v_sub_f16_e32 v71, v22, v34
	s_mov_b32 s18, 0xba95
	v_mul_f16_e32 v88, 0x388b, v80
	v_fma_f16 v66, v70, s16, -v84
	v_add_f16_e32 v72, v20, v23
	v_add_f16_e32 v85, v54, v57
	s_mov_b32 s19, 0xb5ac
	v_mul_f16_e32 v91, 0xbb7b, v81
	v_add_f16_e32 v66, v21, v66
	v_fma_f16 v67, v71, s18, v88
	s_movk_i32 s17, 0x2fb7
	v_mul_f16_e32 v95, 0xbbf1, v77
	v_sub_f16_e32 v73, v23, v20
	s_mov_b32 s22, 0xbb7b
	v_mul_f16_e32 v92, 0xb5ac, v85
	v_fma_f16 v74, v72, s19, -v91
	v_add_f16_e32 v67, v55, v67
	s_mov_b32 s20, 0xbbf1
	v_mul_f16_e32 v97, 0x2fb7, v80
	v_fma_f16 v68, v70, s17, -v95
	v_add_f16_e32 v66, v74, v66
	v_fma_f16 v74, v73, s22, v92
	s_mov_b32 s21, 0xbbc4
	v_mul_f16_e32 v101, 0xb3a8, v81
	v_add_f16_e32 v68, v21, v68
	v_fma_f16 v69, v71, s20, v97
	v_add_f16_e32 v67, v74, v67
	s_mov_b32 s23, 0xb3a8
	v_mul_f16_e32 v104, 0xbbc4, v85
	v_fma_f16 v74, v72, s21, -v101
	v_add_f16_e32 v69, v55, v69
	v_add_f16_e32 v68, v74, v68
	v_fma_f16 v74, v73, s23, v104
	v_sub_f16_e32 v86, v58, v59
	v_add_f16_e32 v69, v74, v69
	v_add_f16_e32 v74, v19, v24
	;; [unrolled: 1-line block ×3, first 2 shown]
	v_mul_f16_e32 v96, 0xb3a8, v86
	v_sub_f16_e32 v75, v24, v19
	v_mul_f16_e32 v99, 0xbbc4, v90
	v_fma_f16 v76, v74, s21, -v96
	v_add_f16_e32 v66, v76, v66
	v_fma_f16 v76, v75, s23, v99
	v_mul_f16_e32 v106, 0x3b7b, v86
	v_add_f16_e32 v67, v76, v67
	v_mul_f16_e32 v108, 0xb5ac, v90
	v_fma_f16 v76, v74, s19, -v106
	v_add_f16_e32 v68, v76, v68
	v_fma_f16 v76, v75, s27, v108
	v_sub_f16_e32 v89, v60, v61
	v_add_f16_e32 v69, v76, v69
	v_add_f16_e32 v76, v28, v25
	;; [unrolled: 1-line block ×3, first 2 shown]
	s_mov_b32 s24, 0xb9fd
	v_mul_f16_e32 v102, 0x394e, v89
	v_sub_f16_e32 v78, v25, v28
	v_mul_f16_e32 v105, 0xb9fd, v93
	v_fma_f16 v79, v76, s24, -v102
	v_add_f16_e32 v66, v79, v66
	v_fma_f16 v79, v78, s28, v105
	s_movk_i32 s25, 0x3b15
	v_mul_f16_e32 v111, 0x3770, v89
	v_add_f16_e32 v67, v79, v67
	s_movk_i32 s29, 0x3770
	v_mul_f16_e32 v113, 0x3b15, v93
	v_fma_f16 v79, v76, s25, -v111
	v_add_f16_e32 v68, v79, v68
	v_fma_f16 v79, v78, s29, v113
	v_sub_f16_e32 v94, v62, v64
	v_add_f16_e32 v69, v79, v69
	v_add_f16_e32 v79, v27, v26
	;; [unrolled: 1-line block ×3, first 2 shown]
	v_mul_f16_e32 v107, 0x3bf1, v94
	v_sub_f16_e32 v82, v26, v27
	s_movk_i32 s30, 0x3bf1
	v_mul_f16_e32 v109, 0x2fb7, v100
	v_fma_f16 v83, v79, s17, -v107
	v_add_f16_e32 v66, v83, v66
	v_fma_f16 v83, v82, s30, v109
	v_mul_f16_e32 v114, 0xba95, v94
	v_add_f16_e32 v67, v83, v67
	v_mul_f16_e32 v115, 0x388b, v100
	v_fma_f16 v83, v79, s16, -v114
	v_sub_f16_e32 v98, v63, v65
	v_add_f16_e32 v118, v83, v68
	v_fma_f16 v68, v82, s18, v115
	v_add_f16_e32 v83, v30, v29
	v_add_f16_e32 v103, v65, v63
	v_mul_f16_e32 v110, 0x3770, v98
	v_add_f16_e32 v119, v68, v69
	v_sub_f16_e32 v87, v29, v30
	v_mul_f16_e32 v112, 0x3b15, v103
	v_fma_f16 v68, v83, s25, -v110
	v_add_f16_e32 v68, v68, v66
	v_fma_f16 v66, v87, s29, v112
	s_mov_b32 s26, 0xb94e
	v_mul_f16_e32 v116, 0xb94e, v98
	v_mul_f16_e32 v117, 0xb9fd, v103
	v_add_f16_e32 v69, v66, v67
	v_fma_f16 v66, v83, s24, -v116
	v_fma_f16 v67, v87, s26, v117
	v_add_f16_e32 v66, v66, v118
	v_add_f16_e32 v67, v67, v119
	s_barrier
	s_and_saveexec_b64 s[14:15], s[0:1]
	s_cbranch_execz .LBB0_21
; %bb.20:
	v_mul_f16_e32 v118, 0xbb7b, v71
	v_fma_f16 v119, v80, s19, v118
	v_mul_f16_e32 v120, 0x394e, v73
	v_add_f16_e32 v119, v55, v119
	v_fma_f16 v121, v85, s24, v120
	v_add_f16_e32 v119, v121, v119
	v_mul_f16_e32 v121, 0x3770, v75
	v_fma_f16 v122, v90, s25, v121
	v_add_f16_e32 v119, v122, v119
	v_mul_f16_e32 v122, 0xbbf1, v78
	;; [unrolled: 3-line block ×5, first 2 shown]
	v_fma_f16 v126, v70, s19, -v125
	v_mul_f16_e32 v127, 0x394e, v81
	v_add_f16_e32 v126, v21, v126
	v_fma_f16 v128, v72, s24, -v127
	v_add_f16_e32 v126, v128, v126
	v_mul_f16_e32 v128, 0x3770, v86
	v_fma_f16 v129, v74, s25, -v128
	v_add_f16_e32 v126, v129, v126
	v_mul_f16_e32 v129, 0xbbf1, v89
	;; [unrolled: 3-line block ×5, first 2 shown]
	v_fma_f16 v133, v80, s24, v132
	v_mul_f16_e32 v134, 0x3bf1, v73
	v_add_f16_e32 v133, v55, v133
	v_fma_f16 v135, v85, s17, v134
	v_add_f16_e32 v133, v135, v133
	v_mul_f16_e32 v135, 0xba95, v75
	v_fma_f16 v136, v90, s16, v135
	v_add_f16_e32 v133, v136, v133
	v_mul_f16_e32 v136, 0x33a8, v78
	;; [unrolled: 3-line block ×5, first 2 shown]
	v_fma_f16 v140, v70, s24, -v139
	v_mul_f16_e32 v141, 0x3bf1, v81
	v_add_f16_e32 v140, v21, v140
	v_fma_f16 v142, v72, s17, -v141
	v_add_f16_e32 v140, v142, v140
	v_mul_f16_e32 v142, 0xba95, v86
	v_fma_f16 v143, v74, s16, -v142
	v_add_f16_e32 v140, v143, v140
	v_mul_f16_e32 v143, 0x33a8, v89
	v_fma_f16 v144, v76, s21, -v143
	v_add_f16_e32 v140, v144, v140
	v_mul_f16_e32 v144, 0x3770, v94
	v_fma_f16 v145, v79, s25, -v144
	v_add_f16_e32 v140, v145, v140
	v_mul_f16_e32 v145, 0xbb7b, v98
	v_fma_f16 v146, v83, s19, -v145
	v_add_f16_e32 v140, v146, v140
	v_mul_f16_e32 v146, 0xb3a8, v71
	v_fma_f16 v147, v80, s21, v146
	v_mul_f16_e32 v148, 0x3770, v73
	v_add_f16_e32 v147, v55, v147
	v_fma_f16 v149, v85, s25, v148
	v_add_f16_e32 v147, v149, v147
	v_mul_f16_e32 v149, 0xb94e, v75
	v_fma_f16 v150, v90, s24, v149
	v_add_f16_e32 v147, v150, v147
	v_mul_f16_e32 v150, 0x3a95, v78
	;; [unrolled: 3-line block ×5, first 2 shown]
	v_fma_f16 v154, v70, s21, -v153
	v_mul_f16_e32 v155, 0x3770, v81
	v_add_f16_e32 v154, v21, v154
	v_fma_f16 v156, v72, s25, -v155
	v_add_f16_e32 v154, v156, v154
	v_mul_f16_e32 v156, 0xb94e, v86
	v_fma_f16 v146, v80, s21, -v146
	v_fma_f16 v157, v74, s24, -v156
	v_add_f16_e32 v146, v55, v146
	v_fma_f16 v148, v85, s25, -v148
	v_add_f16_e32 v154, v157, v154
	v_mul_f16_e32 v157, 0x3a95, v89
	v_add_f16_e32 v146, v148, v146
	v_fma_f16 v148, v90, s24, -v149
	v_fma_f16 v149, v70, s21, v153
	v_fma_f16 v158, v76, s16, -v157
	v_add_f16_e32 v146, v148, v146
	v_fma_f16 v148, v93, s16, -v150
	v_add_f16_e32 v149, v21, v149
	v_fma_f16 v150, v72, s25, v155
	v_add_f16_e32 v154, v158, v154
	v_mul_f16_e32 v158, 0xbb7b, v94
	v_add_f16_e32 v146, v148, v146
	v_fma_f16 v148, v100, s19, -v151
	v_add_f16_e32 v149, v150, v149
	v_fma_f16 v151, v74, s24, v156
	v_fma_f16 v132, v80, s24, -v132
	v_fma_f16 v159, v79, s19, -v158
	v_add_f16_e32 v146, v148, v146
	v_fma_f16 v148, v103, s17, -v152
	v_add_f16_e32 v149, v151, v149
	v_fma_f16 v152, v76, s16, v157
	v_add_f16_e32 v132, v55, v132
	v_fma_f16 v134, v85, s17, -v134
	v_fma_f16 v118, v80, s19, -v118
	v_add_f16_e32 v154, v159, v154
	v_mul_f16_e32 v159, 0x3bf1, v98
	v_add_f16_e32 v146, v148, v146
	v_mul_f16_e32 v148, 0x388b, v70
	v_add_f16_e32 v149, v152, v149
	v_fma_f16 v153, v79, s19, v158
	v_add_f16_e32 v132, v134, v132
	v_fma_f16 v135, v90, s16, -v135
	v_fma_f16 v139, v70, s24, v139
	v_add_f16_e32 v118, v55, v118
	v_fma_f16 v120, v85, s24, -v120
	v_mul_f16_e32 v150, 0xba95, v71
	v_add_f16_e32 v149, v153, v149
	v_mul_f16_e32 v153, 0xb5ac, v72
	v_fma_f16 v155, v83, s17, v159
	v_add_f16_e32 v132, v135, v132
	v_fma_f16 v136, v93, s21, -v136
	v_add_f16_e32 v139, v21, v139
	v_fma_f16 v141, v72, s17, v141
	v_add_f16_e32 v118, v120, v118
	v_fma_f16 v121, v90, s25, -v121
	v_add_f16_e32 v84, v148, v84
	v_add_f16_e32 v149, v155, v149
	v_mul_f16_e32 v155, 0xbb7b, v73
	v_add_f16_e32 v132, v136, v132
	v_mul_f16_e32 v136, 0xbbc4, v74
	v_fma_f16 v137, v100, s25, -v137
	v_add_f16_e32 v139, v141, v139
	v_fma_f16 v142, v74, s16, v142
	v_add_f16_e32 v118, v121, v118
	v_fma_f16 v122, v93, s17, -v122
	v_sub_f16_e32 v88, v88, v150
	v_add_f16_e32 v84, v21, v84
	v_add_f16_e32 v91, v153, v91
	;; [unrolled: 1-line block ×4, first 2 shown]
	v_mul_f16_e32 v137, 0xb3a8, v75
	v_add_f16_e32 v139, v142, v139
	v_mul_f16_e32 v142, 0xb9fd, v76
	v_fma_f16 v143, v76, s21, v143
	v_add_f16_e32 v118, v122, v118
	v_fma_f16 v123, v100, s21, -v123
	v_add_f16_e32 v88, v55, v88
	v_sub_f16_e32 v92, v92, v155
	v_add_f16_e32 v84, v91, v84
	v_add_f16_e32 v91, v136, v96
	;; [unrolled: 1-line block ×4, first 2 shown]
	v_mul_f16_e32 v143, 0x394e, v78
	v_mul_f16_e32 v120, 0x2fb7, v79
	v_add_f16_e32 v118, v123, v118
	v_fma_f16 v124, v103, s16, -v124
	v_fma_f16 v125, v70, s19, v125
	v_add_f16_e32 v88, v92, v88
	v_sub_f16_e32 v92, v99, v137
	v_add_f16_e32 v84, v91, v84
	v_add_f16_e32 v91, v142, v102
	;; [unrolled: 1-line block ×3, first 2 shown]
	v_mul_f16_e32 v121, 0x3bf1, v82
	v_add_f16_e32 v118, v124, v118
	v_mul_f16_e32 v124, 0x3b15, v83
	v_add_f16_e32 v125, v21, v125
	v_fma_f16 v127, v72, s24, v127
	v_add_f16_e32 v88, v92, v88
	v_sub_f16_e32 v92, v105, v143
	v_add_f16_e32 v84, v91, v84
	v_add_f16_e32 v91, v120, v107
	;; [unrolled: 1-line block ×4, first 2 shown]
	v_mul_f16_e32 v127, 0x3770, v87
	v_add_f16_e32 v88, v92, v88
	v_sub_f16_e32 v92, v109, v121
	v_add_f16_e32 v84, v91, v84
	v_add_f16_e32 v91, v124, v110
	v_mul_f16_e32 v80, 0x3b15, v80
	v_add_f16_e32 v22, v26, v22
	s_movk_i32 s33, 0x3a95
	v_add_f16_e32 v88, v92, v88
	v_sub_f16_e32 v92, v112, v127
	v_add_f16_e32 v84, v91, v84
	v_fma_f16 v91, v71, s29, v80
	v_mul_f16_e32 v85, 0x388b, v85
	v_add_f16_e32 v22, v29, v22
	v_add_f16_e32 v88, v92, v88
	v_add_f16_e32 v91, v55, v91
	v_fma_f16 v92, v73, s33, v85
	v_mul_f16_e32 v90, 0x2fb7, v90
	v_add_f16_e32 v22, v30, v22
	v_add_f16_e32 v91, v92, v91
	v_fma_f16 v92, v75, s30, v90
	v_add_f16_e32 v22, v27, v22
	v_add_f16_e32 v91, v92, v91
	v_mul_f16_e32 v92, 0xb5ac, v93
	v_add_f16_e32 v22, v28, v22
	v_fma_f16 v93, v78, s27, v92
	s_mov_b32 s27, 0xb770
	v_add_f16_e32 v19, v19, v22
	v_add_f16_e32 v19, v20, v19
	v_add_f16_e32 v20, v56, v55
	v_fma_f16 v22, v71, s27, v80
	v_add_f16_e32 v91, v93, v91
	v_mul_f16_e32 v93, 0xb9fd, v100
	v_add_f16_e32 v20, v57, v20
	v_add_f16_e32 v22, v55, v22
	v_fma_f16 v23, v73, s18, v85
	v_fma_f16 v96, v82, s28, v93
	v_add_f16_e32 v20, v58, v20
	v_add_f16_e32 v22, v23, v22
	v_fma_f16 v23, v75, s20, v90
	s_movk_i32 s31, 0x33a8
	v_add_f16_e32 v91, v96, v91
	v_mul_f16_e32 v96, 0xbbc4, v103
	v_add_f16_e32 v20, v60, v20
	v_add_f16_e32 v22, v23, v22
	v_fma_f16 v23, v78, s22, v92
	v_fma_f16 v99, v87, s31, v96
	v_mul_f16_e32 v77, 0xb770, v77
	v_add_f16_e32 v20, v62, v20
	v_add_f16_e32 v22, v23, v22
	v_fma_f16 v23, v82, s26, v93
	v_mul_f16_e32 v151, 0x2fb7, v70
	v_mul_f16_e32 v152, 0xbbf1, v71
	v_add_f16_e32 v91, v99, v91
	v_fma_f16 v99, v70, s25, v77
	v_mul_f16_e32 v81, 0xba95, v81
	v_add_f16_e32 v20, v63, v20
	v_add_f16_e32 v22, v23, v22
	v_fma_f16 v23, v87, s23, v96
	v_mul_f16_e32 v134, 0xbbc4, v72
	v_mul_f16_e32 v135, 0xb3a8, v73
	v_fma_f16 v138, v103, s19, -v138
	v_fma_f16 v144, v79, s25, v144
	v_sub_f16_e32 v97, v97, v152
	v_add_f16_e32 v95, v151, v95
	v_add_f16_e32 v99, v21, v99
	v_fma_f16 v100, v72, s16, v81
	v_mul_f16_e32 v86, 0xbbf1, v86
	v_add_f16_e32 v20, v65, v20
	v_add_f16_e32 v22, v23, v22
	v_fma_f16 v23, v70, s25, -v77
	v_add_f16_e32 v132, v138, v132
	v_mul_f16_e32 v138, 0xb5ac, v74
	v_mul_f16_e32 v141, 0x3b7b, v75
	v_add_f16_e32 v139, v144, v139
	v_fma_f16 v145, v83, s19, v145
	v_add_f16_e32 v97, v55, v97
	v_sub_f16_e32 v104, v104, v135
	v_add_f16_e32 v95, v21, v95
	v_add_f16_e32 v101, v134, v101
	v_add_f16_e32 v99, v100, v99
	v_fma_f16 v100, v74, s17, v86
	v_mul_f16_e32 v89, 0xbb7b, v89
	v_add_f16_e32 v20, v64, v20
	v_add_f16_e32 v21, v21, v23
	v_fma_f16 v23, v72, s16, -v81
	v_mul_f16_e32 v144, 0x3b15, v76
	v_add_f16_e32 v139, v145, v139
	v_mul_f16_e32 v145, 0x3770, v78
	v_fma_f16 v128, v74, s25, v128
	v_add_f16_e32 v97, v104, v97
	v_sub_f16_e32 v104, v108, v141
	v_add_f16_e32 v95, v101, v95
	v_add_f16_e32 v101, v138, v106
	;; [unrolled: 1-line block ×3, first 2 shown]
	v_fma_f16 v100, v76, s19, v89
	v_mul_f16_e32 v94, 0xb94e, v94
	v_add_f16_e32 v20, v61, v20
	v_add_f16_e32 v21, v23, v21
	v_fma_f16 v23, v74, s17, -v86
	v_mul_f16_e32 v122, 0x388b, v79
	v_mul_f16_e32 v123, 0xba95, v82
	v_add_f16_e32 v125, v128, v125
	v_fma_f16 v129, v76, s17, v129
	v_add_f16_e32 v97, v104, v97
	v_sub_f16_e32 v104, v113, v145
	v_add_f16_e32 v95, v101, v95
	v_add_f16_e32 v101, v144, v111
	;; [unrolled: 1-line block ×3, first 2 shown]
	v_fma_f16 v100, v79, s24, v94
	v_mul_f16_e32 v98, 0xb3a8, v98
	v_add_f16_e32 v20, v59, v20
	v_add_f16_e32 v21, v23, v21
	v_fma_f16 v23, v76, s19, -v89
	v_mul_f16_e32 v128, 0xb9fd, v83
	v_add_f16_e32 v125, v129, v125
	v_mul_f16_e32 v129, 0xb94e, v87
	v_add_f16_e32 v97, v104, v97
	v_sub_f16_e32 v104, v115, v123
	v_add_f16_e32 v95, v101, v95
	v_add_f16_e32 v101, v122, v114
	;; [unrolled: 1-line block ×3, first 2 shown]
	v_fma_f16 v100, v83, s21, v98
	v_add_f16_e32 v20, v54, v20
	v_add_f16_e32 v21, v23, v21
	v_fma_f16 v23, v79, s24, -v94
	v_fma_f16 v130, v79, s21, v130
	v_add_f16_e32 v97, v104, v97
	v_sub_f16_e32 v104, v117, v129
	v_add_f16_e32 v95, v101, v95
	v_add_f16_e32 v101, v128, v116
	v_add_f16_e32 v99, v100, v99
	v_add_f16_e32 v19, v34, v19
	v_add_f16_e32 v20, v35, v20
	v_add_f16_e32 v21, v23, v21
	v_fma_f16 v23, v83, s21, -v98
	v_add_f16_e32 v125, v130, v125
	v_fma_f16 v130, v83, s16, v131
	v_add_f16_e32 v97, v104, v97
	v_add_f16_e32 v95, v101, v95
	;; [unrolled: 1-line block ×3, first 2 shown]
	v_lshlrev_b32_e32 v23, 2, v33
	v_pack_b32_f16 v24, v99, v91
	v_pack_b32_f16 v19, v19, v20
	v_fma_f16 v160, v83, s17, -v159
	v_add_f16_e32 v125, v130, v125
	ds_write2_b32 v23, v19, v24 offset1:1
	v_pack_b32_f16 v19, v95, v97
	v_pack_b32_f16 v20, v84, v88
	v_add_f16_e32 v154, v160, v154
	ds_write2_b32 v23, v20, v19 offset0:2 offset1:3
	v_pack_b32_f16 v19, v139, v132
	v_pack_b32_f16 v20, v125, v118
	ds_write2_b32 v23, v20, v19 offset0:4 offset1:5
	v_pack_b32_f16 v19, v154, v147
	v_pack_b32_f16 v20, v149, v146
	;; [unrolled: 3-line block ×3, first 2 shown]
	s_mov_b32 s16, 0x5040100
	ds_write2_b32 v23, v20, v19 offset0:8 offset1:9
	v_perm_b32 v19, v69, v68, s16
	v_perm_b32 v20, v67, v66, s16
	ds_write2_b32 v23, v20, v19 offset0:10 offset1:11
	v_pack_b32_f16 v19, v21, v22
	ds_write_b32 v23, v19 offset:48
.LBB0_21:
	s_or_b64 exec, exec, s[14:15]
	v_add_u32_e32 v23, 0xf00, v31
	s_waitcnt lgkmcnt(0)
	s_barrier
	v_add_u32_e32 v19, 0x980, v31
	ds_read2_b32 v[27:28], v23 offset0:54 offset1:210
	v_add_u32_e32 v23, 0x400, v31
	v_add_u32_e32 v25, 0x1400, v31
	ds_read2_b32 v[21:22], v31 offset1:156
	ds_read2_b32 v[19:20], v19 offset0:16 offset1:250
	ds_read2_b32 v[23:24], v23 offset0:56 offset1:212
	;; [unrolled: 1-line block ×3, first 2 shown]
	s_and_saveexec_b64 s[14:15], s[2:3]
	s_cbranch_execz .LBB0_23
; %bb.22:
	ds_read_b32 v66, v31 offset:3120
	ds_read_b32 v68, v31 offset:6552
	s_waitcnt lgkmcnt(1)
	v_lshrrev_b32_e32 v67, 16, v66
	s_waitcnt lgkmcnt(0)
	v_lshrrev_b32_e32 v69, 16, v68
.LBB0_23:
	s_or_b64 exec, exec, s[14:15]
	s_waitcnt lgkmcnt(2)
	v_lshrrev_b32_e32 v30, 16, v20
	v_mul_f16_sdwa v59, v46, v30 dst_sel:DWORD dst_unused:UNUSED_PAD src0_sel:WORD_1 src1_sel:DWORD
	v_lshrrev_b32_e32 v34, 16, v27
	v_fma_f16 v59, v46, v20, v59
	v_mul_f16_sdwa v20, v46, v20 dst_sel:DWORD dst_unused:UNUSED_PAD src0_sel:WORD_1 src1_sel:DWORD
	v_fma_f16 v20, v46, v30, -v20
	v_mul_f16_sdwa v30, v45, v34 dst_sel:DWORD dst_unused:UNUSED_PAD src0_sel:WORD_1 src1_sel:DWORD
	v_lshrrev_b32_e32 v54, 16, v28
	v_fma_f16 v30, v45, v27, v30
	v_mul_f16_sdwa v27, v45, v27 dst_sel:DWORD dst_unused:UNUSED_PAD src0_sel:WORD_1 src1_sel:DWORD
	v_fma_f16 v27, v45, v34, -v27
	v_mul_f16_sdwa v34, v44, v54 dst_sel:DWORD dst_unused:UNUSED_PAD src0_sel:WORD_1 src1_sel:DWORD
	s_waitcnt lgkmcnt(0)
	v_lshrrev_b32_e32 v56, 16, v25
	v_fma_f16 v34, v44, v28, v34
	v_mul_f16_sdwa v28, v44, v28 dst_sel:DWORD dst_unused:UNUSED_PAD src0_sel:WORD_1 src1_sel:DWORD
	v_fma_f16 v28, v44, v54, -v28
	v_mul_f16_sdwa v44, v43, v56 dst_sel:DWORD dst_unused:UNUSED_PAD src0_sel:WORD_1 src1_sel:DWORD
	v_lshrrev_b32_e32 v58, 16, v26
	v_fma_f16 v44, v43, v25, v44
	v_mul_f16_sdwa v25, v43, v25 dst_sel:DWORD dst_unused:UNUSED_PAD src0_sel:WORD_1 src1_sel:DWORD
	v_fma_f16 v25, v43, v56, -v25
	v_mul_f16_sdwa v43, v42, v58 dst_sel:DWORD dst_unused:UNUSED_PAD src0_sel:WORD_1 src1_sel:DWORD
	v_fma_f16 v43, v42, v26, v43
	v_mul_f16_sdwa v26, v42, v26 dst_sel:DWORD dst_unused:UNUSED_PAD src0_sel:WORD_1 src1_sel:DWORD
	v_lshrrev_b32_e32 v29, 16, v21
	v_fma_f16 v26, v42, v58, -v26
	v_mul_f16_sdwa v42, v41, v69 dst_sel:DWORD dst_unused:UNUSED_PAD src0_sel:WORD_1 src1_sel:DWORD
	v_mul_f16_sdwa v45, v41, v68 dst_sel:DWORD dst_unused:UNUSED_PAD src0_sel:WORD_1 src1_sel:DWORD
	v_lshrrev_b32_e32 v33, 16, v22
	v_fma_f16 v42, v41, v68, v42
	v_fma_f16 v41, v41, v69, -v45
	v_sub_f16_e32 v45, v21, v59
	v_sub_f16_e32 v46, v29, v20
	;; [unrolled: 1-line block ×3, first 2 shown]
	v_lshrrev_b32_e32 v35, 16, v23
	v_fma_f16 v54, v21, 2.0, -v45
	v_fma_f16 v56, v29, 2.0, -v46
	v_sub_f16_e32 v58, v22, v30
	v_sub_f16_e32 v59, v33, v27
	v_fma_f16 v62, v23, 2.0, -v34
	v_sub_f16_e32 v21, v24, v44
	v_sub_f16_e32 v23, v19, v43
	v_lshrrev_b32_e32 v55, 16, v24
	v_lshrrev_b32_e32 v57, 16, v19
	v_fma_f16 v60, v22, 2.0, -v58
	v_fma_f16 v33, v33, 2.0, -v59
	v_sub_f16_e32 v61, v35, v28
	v_fma_f16 v20, v24, 2.0, -v21
	v_fma_f16 v24, v19, 2.0, -v23
	v_sub_f16_e32 v19, v66, v42
	v_sub_f16_e32 v27, v67, v41
	v_pack_b32_f16 v41, v54, v56
	v_pack_b32_f16 v42, v45, v46
	v_fma_f16 v35, v35, 2.0, -v61
	v_sub_f16_e32 v25, v55, v25
	s_barrier
	ds_write2_b32 v47, v41, v42 offset1:13
	v_pack_b32_f16 v33, v60, v33
	v_pack_b32_f16 v41, v58, v59
	v_fma_f16 v22, v55, 2.0, -v25
	v_sub_f16_e32 v26, v57, v26
	ds_write2_b32 v48, v33, v41 offset1:13
	v_pack_b32_f16 v33, v62, v35
	v_pack_b32_f16 v34, v34, v61
	v_fma_f16 v29, v57, 2.0, -v26
	ds_write2_b32 v49, v33, v34 offset1:13
	v_pack_b32_f16 v33, v20, v22
	v_pack_b32_f16 v34, v21, v25
	v_fma_f16 v28, v66, 2.0, -v19
	v_fma_f16 v30, v67, 2.0, -v27
	ds_write2_b32 v50, v33, v34 offset1:13
	v_pack_b32_f16 v33, v24, v29
	v_pack_b32_f16 v34, v23, v26
	ds_write2_b32 v51, v33, v34 offset1:13
	s_and_saveexec_b64 s[14:15], s[2:3]
	s_cbranch_execz .LBB0_25
; %bb.24:
	v_mad_legacy_u16 v33, v38, 26, v39
	s_mov_b32 s2, 0x5040100
	v_lshlrev_b32_e32 v33, 2, v33
	v_perm_b32 v34, v30, v28, s2
	v_perm_b32 v35, v27, v19, s2
	ds_write2_b32 v33, v34, v35 offset1:13
.LBB0_25:
	s_or_b64 exec, exec, s[14:15]
	s_waitcnt lgkmcnt(0)
	s_barrier
	ds_read_b32 v33, v31
	ds_read_b32 v41, v31 offset:1144
	ds_read_b32 v39, v31 offset:2288
	;; [unrolled: 1-line block ×5, first 2 shown]
	s_and_saveexec_b64 s[2:3], s[4:5]
	s_cbranch_execz .LBB0_27
; %bb.26:
	ds_read_b32 v20, v31 offset:624
	ds_read_b32 v21, v31 offset:1768
	;; [unrolled: 1-line block ×6, first 2 shown]
	s_waitcnt lgkmcnt(5)
	v_lshrrev_b32_e32 v22, 16, v20
	s_waitcnt lgkmcnt(4)
	v_lshrrev_b32_e32 v25, 16, v21
	;; [unrolled: 2-line block ×6, first 2 shown]
.LBB0_27:
	s_or_b64 exec, exec, s[2:3]
	s_waitcnt lgkmcnt(4)
	v_lshrrev_b32_e32 v43, 16, v41
	v_mul_f16_sdwa v48, v4, v43 dst_sel:DWORD dst_unused:UNUSED_PAD src0_sel:WORD_1 src1_sel:DWORD
	s_waitcnt lgkmcnt(3)
	v_lshrrev_b32_e32 v44, 16, v39
	v_fma_f16 v48, v4, v41, v48
	v_mul_f16_sdwa v41, v4, v41 dst_sel:DWORD dst_unused:UNUSED_PAD src0_sel:WORD_1 src1_sel:DWORD
	v_fma_f16 v4, v4, v43, -v41
	v_mul_f16_sdwa v41, v5, v44 dst_sel:DWORD dst_unused:UNUSED_PAD src0_sel:WORD_1 src1_sel:DWORD
	s_waitcnt lgkmcnt(2)
	v_lshrrev_b32_e32 v45, 16, v38
	v_fma_f16 v41, v5, v39, v41
	v_mul_f16_sdwa v39, v5, v39 dst_sel:DWORD dst_unused:UNUSED_PAD src0_sel:WORD_1 src1_sel:DWORD
	v_fma_f16 v5, v5, v44, -v39
	;; [unrolled: 6-line block ×3, first 2 shown]
	v_mul_f16_sdwa v38, v7, v46 dst_sel:DWORD dst_unused:UNUSED_PAD src0_sel:WORD_1 src1_sel:DWORD
	v_fma_f16 v38, v7, v35, v38
	v_mul_f16_sdwa v35, v7, v35 dst_sel:DWORD dst_unused:UNUSED_PAD src0_sel:WORD_1 src1_sel:DWORD
	s_waitcnt lgkmcnt(0)
	v_lshrrev_b32_e32 v47, 16, v34
	v_fma_f16 v7, v7, v46, -v35
	v_add_f16_e32 v44, v41, v38
	v_lshrrev_b32_e32 v42, 16, v33
	v_mul_f16_sdwa v35, v52, v47 dst_sel:DWORD dst_unused:UNUSED_PAD src0_sel:WORD_1 src1_sel:DWORD
	v_add_f16_e32 v43, v33, v41
	v_fma_f16 v33, v44, -0.5, v33
	v_sub_f16_e32 v44, v5, v7
	s_mov_b32 s14, 0xbaee
	s_movk_i32 s15, 0x3aee
	v_fma_f16 v35, v52, v34, v35
	v_mul_f16_sdwa v34, v52, v34 dst_sel:DWORD dst_unused:UNUSED_PAD src0_sel:WORD_1 src1_sel:DWORD
	v_fma_f16 v45, v44, s14, v33
	v_fma_f16 v33, v44, s15, v33
	v_add_f16_e32 v44, v42, v5
	v_fma_f16 v34, v52, v47, -v34
	v_add_f16_e32 v44, v44, v7
	v_add_f16_e32 v5, v5, v7
	v_sub_f16_e32 v7, v41, v38
	v_add_f16_e32 v41, v39, v35
	v_fma_f16 v5, v5, -0.5, v42
	v_fma_f16 v41, v41, -0.5, v48
	v_sub_f16_e32 v42, v6, v34
	v_fma_f16 v46, v42, s14, v41
	v_fma_f16 v41, v42, s15, v41
	v_add_f16_e32 v42, v4, v6
	v_add_f16_e32 v6, v6, v34
	v_fma_f16 v4, v6, -0.5, v4
	v_sub_f16_e32 v6, v39, v35
	v_add_f16_e32 v43, v43, v38
	v_fma_f16 v38, v7, s15, v5
	v_fma_f16 v5, v7, s14, v5
	v_add_f16_e32 v7, v48, v39
	v_add_f16_e32 v42, v42, v34
	v_fma_f16 v34, v6, s15, v4
	v_add_f16_e32 v7, v7, v35
	v_fma_f16 v4, v6, s14, v4
	v_mul_f16_e32 v35, 0xbaee, v34
	v_mul_f16_e32 v34, 0.5, v34
	v_fma_f16 v35, v46, 0.5, v35
	v_mul_f16_e32 v47, 0xbaee, v4
	v_fma_f16 v34, v46, s15, v34
	v_mul_f16_e32 v4, -0.5, v4
	v_add_f16_e32 v6, v43, v7
	v_add_f16_e32 v39, v45, v35
	v_fma_f16 v47, v41, -0.5, v47
	v_add_f16_e32 v49, v44, v42
	v_add_f16_e32 v46, v38, v34
	v_fma_f16 v4, v41, s15, v4
	v_add_f16_e32 v48, v33, v47
	v_add_f16_e32 v41, v5, v4
	v_sub_f16_e32 v7, v43, v7
	v_sub_f16_e32 v42, v44, v42
	;; [unrolled: 1-line block ×3, first 2 shown]
	v_pack_b32_f16 v5, v6, v49
	v_pack_b32_f16 v6, v39, v46
	v_sub_f16_e32 v35, v45, v35
	v_sub_f16_e32 v33, v33, v47
	;; [unrolled: 1-line block ×3, first 2 shown]
	s_barrier
	ds_write2_b32 v53, v5, v6 offset1:26
	v_pack_b32_f16 v5, v48, v41
	v_pack_b32_f16 v6, v7, v42
	ds_write2_b32 v53, v5, v6 offset0:52 offset1:78
	v_pack_b32_f16 v5, v35, v34
	v_pack_b32_f16 v4, v33, v4
	ds_write2_b32 v53, v5, v4 offset0:104 offset1:130
	s_and_saveexec_b64 s[2:3], s[4:5]
	s_cbranch_execz .LBB0_29
; %bb.28:
	v_mul_f16_sdwa v4, v1, v24 dst_sel:DWORD dst_unused:UNUSED_PAD src0_sel:WORD_1 src1_sel:DWORD
	v_mul_f16_sdwa v5, v3, v28 dst_sel:DWORD dst_unused:UNUSED_PAD src0_sel:WORD_1 src1_sel:DWORD
	;; [unrolled: 1-line block ×3, first 2 shown]
	v_fma_f16 v4, v1, v29, -v4
	v_fma_f16 v5, v3, v30, -v5
	v_fma_f16 v1, v1, v24, v7
	v_mul_f16_sdwa v7, v3, v30 dst_sel:DWORD dst_unused:UNUSED_PAD src0_sel:WORD_1 src1_sel:DWORD
	v_mul_f16_sdwa v29, v2, v26 dst_sel:DWORD dst_unused:UNUSED_PAD src0_sel:WORD_1 src1_sel:DWORD
	;; [unrolled: 1-line block ×3, first 2 shown]
	v_fma_f16 v3, v3, v28, v7
	v_mul_f16_sdwa v28, v0, v25 dst_sel:DWORD dst_unused:UNUSED_PAD src0_sel:WORD_1 src1_sel:DWORD
	v_fma_f16 v29, v2, v23, v29
	v_fma_f16 v30, v40, v19, v30
	v_mul_f16_sdwa v23, v2, v23 dst_sel:DWORD dst_unused:UNUSED_PAD src0_sel:WORD_1 src1_sel:DWORD
	v_mul_f16_sdwa v19, v40, v19 dst_sel:DWORD dst_unused:UNUSED_PAD src0_sel:WORD_1 src1_sel:DWORD
	v_fma_f16 v28, v0, v21, v28
	v_fma_f16 v2, v2, v26, -v23
	v_fma_f16 v19, v40, v27, -v19
	v_mul_f16_sdwa v21, v0, v21 dst_sel:DWORD dst_unused:UNUSED_PAD src0_sel:WORD_1 src1_sel:DWORD
	v_fma_f16 v0, v0, v25, -v21
	v_add_f16_e32 v21, v19, v2
	v_fma_f16 v21, v21, -0.5, v0
	v_add_f16_e32 v0, v2, v0
	v_add_f16_e32 v6, v5, v4
	;; [unrolled: 1-line block ×3, first 2 shown]
	v_sub_f16_e32 v23, v2, v19
	v_sub_f16_e32 v25, v29, v30
	v_add_f16_e32 v0, v19, v0
	v_add_f16_e32 v19, v3, v1
	v_fma_f16 v6, v6, -0.5, v22
	v_sub_f16_e32 v7, v1, v3
	v_fma_f16 v33, v33, -0.5, v28
	v_fma_f16 v27, v25, s14, v21
	v_fma_f16 v21, v25, s15, v21
	v_add_f16_e32 v22, v4, v22
	v_fma_f16 v19, v19, -0.5, v20
	v_sub_f16_e32 v4, v4, v5
	v_add_f16_e32 v1, v1, v20
	v_fma_f16 v24, v7, s14, v6
	v_fma_f16 v26, v23, s15, v33
	;; [unrolled: 1-line block ×4, first 2 shown]
	v_mul_f16_e32 v23, 0.5, v21
	v_add_f16_e32 v22, v5, v22
	v_fma_f16 v5, v4, s15, v19
	v_fma_f16 v4, v4, s14, v19
	v_mul_f16_e32 v19, 0xbaee, v21
	v_add_f16_e32 v1, v3, v1
	v_add_f16_e32 v3, v29, v28
	v_mul_f16_e32 v34, -0.5, v27
	v_fma_f16 v23, v7, s15, v23
	v_mul_f16_e32 v27, 0xbaee, v27
	v_fma_f16 v7, v7, 0.5, v19
	v_add_f16_e32 v3, v30, v3
	s_movk_i32 s4, 0x9c
	v_fma_f16 v34, v26, s15, v34
	v_sub_f16_e32 v25, v6, v23
	v_sub_f16_e32 v2, v22, v0
	v_fma_f16 v26, v26, -0.5, v27
	v_sub_f16_e32 v19, v4, v7
	v_sub_f16_e32 v20, v1, v3
	v_add_f16_e32 v6, v6, v23
	v_add_f16_e32 v0, v22, v0
	;; [unrolled: 1-line block ×4, first 2 shown]
	v_mad_legacy_u16 v3, v36, s4, v37
	v_sub_f16_e32 v27, v5, v26
	v_add_f16_e32 v21, v24, v34
	v_add_f16_e32 v5, v5, v26
	v_lshlrev_b32_e32 v3, 2, v3
	v_pack_b32_f16 v0, v1, v0
	v_pack_b32_f16 v1, v4, v6
	v_sub_f16_e32 v35, v24, v34
	ds_write2_b32 v3, v0, v1 offset1:26
	v_pack_b32_f16 v0, v5, v21
	v_pack_b32_f16 v1, v20, v2
	ds_write2_b32 v3, v0, v1 offset0:52 offset1:78
	v_pack_b32_f16 v0, v19, v25
	v_pack_b32_f16 v1, v27, v35
	ds_write2_b32 v3, v0, v1 offset0:104 offset1:130
.LBB0_29:
	s_or_b64 exec, exec, s[2:3]
	s_waitcnt lgkmcnt(0)
	s_barrier
	ds_read2_b32 v[0:1], v31 offset1:156
	v_add_u32_e32 v21, 0x400, v31
	ds_read2_b32 v[2:3], v21 offset0:56 offset1:212
	ds_read_b32 v22, v31 offset:2496
	v_add_u32_e32 v4, 0xc00, v31
	ds_read2_b32 v[4:5], v4 offset0:12 offset1:168
	s_waitcnt lgkmcnt(3)
	v_lshrrev_b32_e32 v23, 16, v1
	v_mul_f16_sdwa v35, v8, v23 dst_sel:DWORD dst_unused:UNUSED_PAD src0_sel:WORD_1 src1_sel:DWORD
	s_waitcnt lgkmcnt(2)
	v_lshrrev_b32_e32 v24, 16, v2
	v_fma_f16 v35, v8, v1, v35
	v_mul_f16_sdwa v1, v8, v1 dst_sel:DWORD dst_unused:UNUSED_PAD src0_sel:WORD_1 src1_sel:DWORD
	v_fma_f16 v1, v8, v23, -v1
	v_mul_f16_sdwa v8, v9, v24 dst_sel:DWORD dst_unused:UNUSED_PAD src0_sel:WORD_1 src1_sel:DWORD
	v_lshrrev_b32_e32 v25, 16, v3
	v_fma_f16 v8, v9, v2, v8
	v_mul_f16_sdwa v2, v9, v2 dst_sel:DWORD dst_unused:UNUSED_PAD src0_sel:WORD_1 src1_sel:DWORD
	v_fma_f16 v2, v9, v24, -v2
	v_mul_f16_sdwa v9, v10, v25 dst_sel:DWORD dst_unused:UNUSED_PAD src0_sel:WORD_1 src1_sel:DWORD
	s_waitcnt lgkmcnt(1)
	v_lshrrev_b32_e32 v26, 16, v22
	v_add_u32_e32 v6, 0x1000, v31
	v_fma_f16 v9, v10, v3, v9
	v_mul_f16_sdwa v3, v10, v3 dst_sel:DWORD dst_unused:UNUSED_PAD src0_sel:WORD_1 src1_sel:DWORD
	ds_read2_b32 v[6:7], v6 offset0:68 offset1:224
	v_fma_f16 v3, v10, v25, -v3
	v_mul_f16_sdwa v10, v11, v26 dst_sel:DWORD dst_unused:UNUSED_PAD src0_sel:WORD_1 src1_sel:DWORD
	s_waitcnt lgkmcnt(1)
	v_lshrrev_b32_e32 v27, 16, v4
	v_fma_f16 v10, v11, v22, v10
	v_mul_f16_sdwa v22, v11, v22 dst_sel:DWORD dst_unused:UNUSED_PAD src0_sel:WORD_1 src1_sel:DWORD
	v_fma_f16 v11, v11, v26, -v22
	v_mul_f16_sdwa v22, v12, v27 dst_sel:DWORD dst_unused:UNUSED_PAD src0_sel:WORD_1 src1_sel:DWORD
	v_add_u32_e32 v19, 0x1500, v31
	v_lshrrev_b32_e32 v28, 16, v5
	v_fma_f16 v22, v12, v4, v22
	v_mul_f16_sdwa v4, v12, v4 dst_sel:DWORD dst_unused:UNUSED_PAD src0_sel:WORD_1 src1_sel:DWORD
	ds_read2_b32 v[19:20], v19 offset0:60 offset1:216
	v_fma_f16 v4, v12, v27, -v4
	v_mul_f16_sdwa v12, v13, v28 dst_sel:DWORD dst_unused:UNUSED_PAD src0_sel:WORD_1 src1_sel:DWORD
	s_waitcnt lgkmcnt(1)
	v_lshrrev_b32_e32 v29, 16, v6
	v_fma_f16 v12, v13, v5, v12
	v_mul_f16_sdwa v5, v13, v5 dst_sel:DWORD dst_unused:UNUSED_PAD src0_sel:WORD_1 src1_sel:DWORD
	v_fma_f16 v5, v13, v28, -v5
	v_mul_f16_sdwa v13, v14, v29 dst_sel:DWORD dst_unused:UNUSED_PAD src0_sel:WORD_1 src1_sel:DWORD
	v_lshrrev_b32_e32 v30, 16, v7
	v_fma_f16 v13, v14, v6, v13
	v_mul_f16_sdwa v6, v14, v6 dst_sel:DWORD dst_unused:UNUSED_PAD src0_sel:WORD_1 src1_sel:DWORD
	v_fma_f16 v6, v14, v29, -v6
	v_mul_f16_sdwa v14, v15, v30 dst_sel:DWORD dst_unused:UNUSED_PAD src0_sel:WORD_1 src1_sel:DWORD
	s_waitcnt lgkmcnt(0)
	v_lshrrev_b32_e32 v33, 16, v19
	v_fma_f16 v14, v15, v7, v14
	v_mul_f16_sdwa v7, v15, v7 dst_sel:DWORD dst_unused:UNUSED_PAD src0_sel:WORD_1 src1_sel:DWORD
	v_fma_f16 v7, v15, v30, -v7
	v_mul_f16_sdwa v15, v17, v33 dst_sel:DWORD dst_unused:UNUSED_PAD src0_sel:WORD_1 src1_sel:DWORD
	v_lshrrev_b32_e32 v34, 16, v20
	v_fma_f16 v15, v17, v19, v15
	v_mul_f16_sdwa v19, v17, v19 dst_sel:DWORD dst_unused:UNUSED_PAD src0_sel:WORD_1 src1_sel:DWORD
	v_fma_f16 v17, v17, v33, -v19
	v_mul_f16_sdwa v19, v18, v34 dst_sel:DWORD dst_unused:UNUSED_PAD src0_sel:WORD_1 src1_sel:DWORD
	v_fma_f16 v19, v18, v20, v19
	v_mul_f16_sdwa v20, v18, v20 dst_sel:DWORD dst_unused:UNUSED_PAD src0_sel:WORD_1 src1_sel:DWORD
	v_fma_f16 v18, v18, v34, -v20
	v_add_f16_e32 v20, v0, v35
	v_add_f16_sdwa v23, v0, v1 dst_sel:DWORD dst_unused:UNUSED_PAD src0_sel:WORD_1 src1_sel:DWORD
	v_add_f16_e32 v20, v20, v8
	v_add_f16_e32 v23, v23, v2
	;; [unrolled: 1-line block ×17, first 2 shown]
	v_sub_f16_e32 v1, v1, v18
	v_add_f16_e32 v20, v20, v19
	v_add_f16_e32 v23, v23, v18
	;; [unrolled: 1-line block ×3, first 2 shown]
	v_sub_f16_e32 v19, v35, v19
	s_mov_b32 s15, 0xb853
	v_mul_f16_e32 v18, 0xb853, v1
	s_movk_i32 s16, 0x3abb
	v_mul_f16_e32 v27, 0x3abb, v25
	s_movk_i32 s17, 0x3853
	s_mov_b32 s3, 0xbb47
	v_mul_f16_e32 v29, 0xbb47, v1
	s_movk_i32 s4, 0x36a6
	v_mul_f16_e32 v33, 0x36a6, v25
	s_movk_i32 s5, 0x3b47
	s_mov_b32 s2, 0xbbeb
	v_mul_f16_e32 v35, 0xbbeb, v1
	s_mov_b32 s14, 0xb08e
	v_mul_f16_e32 v37, 0xb08e, v25
	s_movk_i32 s18, 0x3beb
	s_mov_b32 s20, 0xba0c
	v_mul_f16_e32 v39, 0xba0c, v1
	s_mov_b32 s21, 0xb93d
	;; [unrolled: 5-line block ×3, first 2 shown]
	v_mul_f16_e32 v25, 0xbbad, v25
	s_movk_i32 s25, 0x3482
	v_fma_f16 v26, v24, s16, v18
	v_fma_f16 v28, v19, s17, v27
	v_fma_f16 v18, v24, s16, -v18
	v_fma_f16 v27, v19, s15, v27
	v_fma_f16 v30, v24, s4, v29
	v_fma_f16 v34, v19, s5, v33
	v_fma_f16 v29, v24, s4, -v29
	v_fma_f16 v33, v19, s3, v33
	;; [unrolled: 4-line block ×5, first 2 shown]
	v_add_f16_e32 v24, v2, v17
	v_sub_f16_e32 v2, v2, v17
	v_add_f16_e32 v26, v0, v26
	v_add_f16_sdwa v28, v0, v28 dst_sel:DWORD dst_unused:UNUSED_PAD src0_sel:WORD_1 src1_sel:DWORD
	v_add_f16_e32 v18, v0, v18
	v_add_f16_sdwa v27, v0, v27 dst_sel:DWORD dst_unused:UNUSED_PAD src0_sel:WORD_1 src1_sel:DWORD
	;; [unrolled: 2-line block ×10, first 2 shown]
	v_add_f16_e32 v19, v8, v15
	v_sub_f16_e32 v8, v8, v15
	v_mul_f16_e32 v15, 0xbb47, v2
	v_fma_f16 v17, v19, s4, v15
	v_mul_f16_e32 v25, 0x36a6, v24
	v_fma_f16 v15, v19, s4, -v15
	v_add_f16_e32 v17, v17, v26
	v_fma_f16 v26, v8, s5, v25
	v_add_f16_e32 v15, v15, v18
	v_fma_f16 v18, v8, s3, v25
	v_mul_f16_e32 v25, 0xba0c, v2
	v_add_f16_e32 v26, v26, v28
	v_add_f16_e32 v18, v18, v27
	v_fma_f16 v27, v19, s21, v25
	v_mul_f16_e32 v28, 0xb93d, v24
	v_fma_f16 v25, v19, s21, -v25
	v_add_f16_e32 v27, v27, v30
	v_fma_f16 v30, v8, s22, v28
	v_add_f16_e32 v25, v25, v29
	v_fma_f16 v28, v8, s20, v28
	v_mul_f16_e32 v29, 0x3482, v2
	v_add_f16_e32 v30, v30, v34
	v_add_f16_e32 v28, v28, v33
	;; [unrolled: 10-line block ×3, first 2 shown]
	v_fma_f16 v37, v19, s14, v35
	v_mul_f16_e32 v38, 0xb08e, v24
	v_fma_f16 v35, v19, s14, -v35
	v_mul_f16_e32 v2, 0x3853, v2
	v_add_f16_e32 v37, v37, v40
	v_fma_f16 v40, v8, s2, v38
	v_add_f16_e32 v35, v35, v39
	v_fma_f16 v38, v8, s18, v38
	v_fma_f16 v39, v19, s16, v2
	v_mul_f16_e32 v24, 0x3abb, v24
	v_fma_f16 v2, v19, s16, -v2
	v_add_f16_e32 v38, v38, v41
	v_fma_f16 v41, v8, s15, v24
	v_add_f16_e32 v1, v2, v1
	v_fma_f16 v2, v8, s17, v24
	v_add_f16_e32 v8, v3, v7
	v_sub_f16_e32 v3, v3, v7
	v_add_f16_e32 v0, v2, v0
	v_add_f16_e32 v2, v9, v14
	v_mul_f16_e32 v7, 0xbbeb, v3
	v_sub_f16_e32 v9, v9, v14
	v_fma_f16 v14, v2, s14, v7
	v_add_f16_e32 v14, v14, v17
	v_mul_f16_e32 v17, 0xb08e, v8
	v_fma_f16 v7, v2, s14, -v7
	v_fma_f16 v19, v9, s18, v17
	v_add_f16_e32 v7, v7, v15
	v_fma_f16 v15, v9, s2, v17
	v_mul_f16_e32 v17, 0x3482, v3
	v_add_f16_e32 v15, v15, v18
	v_fma_f16 v18, v2, s24, v17
	v_fma_f16 v17, v2, s24, -v17
	v_mul_f16_e32 v24, 0xbbad, v8
	v_add_f16_e32 v17, v17, v25
	v_mul_f16_e32 v25, 0x3b47, v3
	v_add_f16_e32 v19, v19, v26
	v_add_f16_e32 v18, v18, v27
	v_fma_f16 v26, v9, s23, v24
	v_fma_f16 v24, v9, s25, v24
	;; [unrolled: 1-line block ×3, first 2 shown]
	v_fma_f16 v25, v2, s4, -v25
	v_add_f16_e32 v24, v24, v28
	v_mul_f16_e32 v28, 0x36a6, v8
	v_add_f16_e32 v25, v25, v29
	v_mul_f16_e32 v29, 0xb853, v3
	v_add_f16_e32 v26, v26, v30
	v_add_f16_e32 v27, v27, v33
	v_fma_f16 v30, v9, s3, v28
	v_fma_f16 v28, v9, s5, v28
	;; [unrolled: 1-line block ×3, first 2 shown]
	v_fma_f16 v29, v2, s16, -v29
	v_mul_f16_e32 v3, 0xba0c, v3
	v_add_f16_e32 v28, v28, v34
	v_mul_f16_e32 v34, 0x3abb, v8
	v_add_f16_e32 v29, v29, v35
	v_fma_f16 v35, v2, s21, v3
	v_mul_f16_e32 v8, 0xb93d, v8
	v_fma_f16 v2, v2, s21, -v3
	v_add_f16_e32 v1, v2, v1
	v_fma_f16 v2, v9, s20, v8
	v_add_f16_e32 v3, v11, v6
	v_sub_f16_e32 v6, v11, v6
	v_add_f16_e32 v30, v30, v36
	v_add_f16_e32 v33, v33, v37
	v_fma_f16 v36, v9, s17, v34
	v_fma_f16 v34, v9, s15, v34
	;; [unrolled: 1-line block ×3, first 2 shown]
	v_add_f16_e32 v0, v2, v0
	v_add_f16_e32 v2, v10, v13
	v_mul_f16_e32 v9, 0xba0c, v6
	v_sub_f16_e32 v8, v10, v13
	v_fma_f16 v10, v2, s21, v9
	v_mul_f16_e32 v11, 0xb93d, v3
	v_fma_f16 v9, v2, s21, -v9
	v_fma_f16 v13, v8, s22, v11
	v_add_f16_e32 v7, v9, v7
	v_fma_f16 v9, v8, s20, v11
	v_mul_f16_e32 v11, 0x3beb, v6
	v_add_f16_e32 v10, v10, v14
	v_fma_f16 v14, v2, s14, v11
	v_fma_f16 v11, v2, s14, -v11
	v_add_f16_e32 v9, v9, v15
	v_mul_f16_e32 v15, 0xb08e, v3
	v_add_f16_e32 v11, v11, v17
	v_mul_f16_e32 v17, 0xb853, v6
	v_add_f16_e32 v13, v13, v19
	v_add_f16_e32 v14, v14, v18
	v_fma_f16 v18, v8, s2, v15
	v_fma_f16 v15, v8, s18, v15
	;; [unrolled: 1-line block ×3, first 2 shown]
	v_fma_f16 v17, v2, s16, -v17
	v_add_f16_e32 v15, v15, v24
	v_mul_f16_e32 v24, 0x3abb, v3
	v_add_f16_e32 v17, v17, v25
	v_mul_f16_e32 v25, 0xb482, v6
	v_add_f16_e32 v18, v18, v26
	v_add_f16_e32 v19, v19, v27
	v_fma_f16 v26, v8, s17, v24
	v_fma_f16 v24, v8, s15, v24
	;; [unrolled: 1-line block ×3, first 2 shown]
	v_fma_f16 v25, v2, s24, -v25
	v_mul_f16_e32 v6, 0x3b47, v6
	v_add_f16_e32 v24, v24, v28
	v_mul_f16_e32 v28, 0xbbad, v3
	v_add_f16_e32 v25, v25, v29
	v_fma_f16 v29, v2, s4, v6
	v_mul_f16_e32 v3, 0x36a6, v3
	v_fma_f16 v2, v2, s4, -v6
	v_add_f16_e32 v27, v27, v33
	v_fma_f16 v33, v8, s3, v3
	v_add_f16_e32 v1, v2, v1
	v_fma_f16 v2, v8, s5, v3
	v_add_f16_e32 v3, v4, v5
	v_sub_f16_e32 v4, v4, v5
	v_add_f16_e32 v0, v2, v0
	v_add_f16_e32 v2, v22, v12
	v_mul_f16_e32 v5, 0xb482, v4
	v_add_f16_e32 v26, v26, v30
	v_fma_f16 v30, v8, s25, v28
	v_fma_f16 v28, v8, s23, v28
	v_fma_f16 v8, v2, s24, v5
	v_sub_f16_e32 v6, v22, v12
	v_add_f16_e32 v8, v8, v10
	v_mul_f16_e32 v10, 0xbbad, v3
	v_fma_f16 v5, v2, s24, -v5
	v_add_f16_e32 v7, v5, v7
	v_fma_f16 v5, v6, s23, v10
	v_fma_f16 v12, v6, s25, v10
	v_add_f16_e32 v9, v5, v9
	v_mul_f16_e32 v5, 0x3853, v4
	v_add_f16_e32 v12, v12, v13
	v_fma_f16 v10, v2, s16, v5
	v_mul_f16_e32 v13, 0x3abb, v3
	v_fma_f16 v5, v2, s16, -v5
	v_add_f16_e32 v10, v10, v14
	v_fma_f16 v14, v6, s15, v13
	v_add_f16_e32 v5, v5, v11
	v_fma_f16 v11, v6, s17, v13
	v_mul_f16_e32 v13, 0xba0c, v4
	v_add_f16_e32 v14, v14, v18
	v_add_f16_e32 v11, v11, v15
	v_fma_f16 v15, v2, s21, v13
	v_mul_f16_e32 v18, 0xb93d, v3
	v_fma_f16 v13, v2, s21, -v13
	v_add_f16_e32 v15, v15, v19
	v_fma_f16 v19, v6, s22, v18
	v_add_f16_e32 v13, v13, v17
	v_fma_f16 v17, v6, s20, v18
	v_mul_f16_e32 v18, 0x3b47, v4
	v_fma_f16 v22, v2, s4, v18
	v_fma_f16 v18, v2, s4, -v18
	v_mul_f16_e32 v4, 0xbbeb, v4
	v_add_f16_e32 v40, v40, v42
	v_add_f16_e32 v17, v17, v24
	v_mul_f16_e32 v24, 0x36a6, v3
	v_add_f16_e32 v18, v18, v25
	v_fma_f16 v25, v2, s14, v4
	v_mul_f16_e32 v3, 0xb08e, v3
	v_fma_f16 v2, v2, s14, -v4
	v_add_f16_e32 v39, v39, v43
	v_add_f16_e32 v41, v41, v44
	;; [unrolled: 1-line block ×4, first 2 shown]
	v_fma_f16 v2, v6, s2, v3
	v_add_f16_e32 v34, v34, v38
	v_add_f16_e32 v35, v35, v39
	;; [unrolled: 1-line block ×6, first 2 shown]
	v_fma_f16 v26, v6, s3, v24
	v_fma_f16 v27, v6, s18, v3
	v_add_f16_e32 v0, v2, v0
	v_pack_b32_f16 v2, v20, v23
	v_pack_b32_f16 v3, v8, v12
	v_add_f16_e32 v28, v28, v34
	v_add_f16_e32 v29, v29, v35
	;; [unrolled: 1-line block ×4, first 2 shown]
	v_fma_f16 v24, v6, s5, v24
	ds_write2_b32 v31, v2, v3 offset1:156
	v_pack_b32_f16 v2, v10, v14
	v_pack_b32_f16 v3, v15, v19
	v_add_f16_e32 v24, v24, v28
	v_add_f16_e32 v25, v25, v29
	;; [unrolled: 1-line block ×3, first 2 shown]
	ds_write2_b32 v21, v2, v3 offset0:56 offset1:212
	v_pack_b32_f16 v2, v22, v26
	ds_write_b32 v31, v2 offset:2496
	v_pack_b32_f16 v2, v25, v27
	v_pack_b32_f16 v0, v1, v0
	v_pack_b32_f16 v1, v18, v24
	v_add_u32_e32 v6, 0xe00, v31
	ds_write_b32 v31, v2 offset:3120
	ds_write2_b32 v6, v0, v1 offset0:40 offset1:196
	v_pack_b32_f16 v0, v13, v17
	v_pack_b32_f16 v1, v5, v11
	v_add_u32_e32 v5, 0x1200, v31
	s_movk_i32 s19, 0x1000
	ds_write2_b32 v5, v0, v1 offset0:96 offset1:252
	v_pack_b32_f16 v0, v7, v9
	ds_write_b32 v31, v0 offset:6240
	s_waitcnt lgkmcnt(0)
	s_barrier
	s_and_b64 exec, exec, s[0:1]
	s_cbranch_execz .LBB0_31
; %bb.30:
	global_load_dword v11, v31, s[6:7]
	global_load_dword v10, v31, s[6:7] offset:528
	ds_read_b32 v19, v31
	s_mov_b32 s14, 0x58e9ebb6
	s_mov_b32 s15, 0x3f431877
	v_mad_u64_u32 v[0:1], s[0:1], s10, v16, 0
	s_waitcnt lgkmcnt(0)
	v_lshrrev_b32_e32 v20, 16, v19
	v_mad_u64_u32 v[2:3], s[0:1], s8, v32, 0
	v_mov_b32_e32 v8, s7
	s_movk_i32 s18, 0x1ff
	v_mad_u64_u32 v[23:24], s[0:1], s11, v16, v[1:2]
	v_add_co_u32_e32 v7, vcc, s6, v31
	v_addc_co_u32_e32 v8, vcc, 0, v8, vcc
	v_mov_b32_e32 v4, 0x7c00
	s_movk_i32 s17, 0xffe
	v_mad_u64_u32 v[24:25], s[0:1], s9, v32, v[3:4]
	v_mov_b32_e32 v1, v23
	global_load_dword v12, v31, s[6:7] offset:1056
	global_load_dword v13, v31, s[6:7] offset:1584
	;; [unrolled: 1-line block ×5, first 2 shown]
	v_add_u32_e32 v17, 0x200, v31
	ds_read2_b32 v[17:18], v17 offset0:4 offset1:136
	s_movk_i32 s16, 0x40f
	s_mov_b32 s10, 0x8000
	v_lshlrev_b64 v[0:1], 2, v[0:1]
	s_waitcnt vmcnt(6)
	v_mul_f16_sdwa v21, v20, v11 dst_sel:DWORD dst_unused:UNUSED_PAD src0_sel:DWORD src1_sel:WORD_1
	v_fma_f16 v21, v19, v11, v21
	v_mul_f16_sdwa v19, v19, v11 dst_sel:DWORD dst_unused:UNUSED_PAD src0_sel:DWORD src1_sel:WORD_1
	v_cvt_f32_f16_e32 v21, v21
	v_fma_f16 v11, v11, v20, -v19
	v_cvt_f32_f16_e32 v11, v11
	v_cvt_f64_f32_e32 v[19:20], v21
	v_cvt_f64_f32_e32 v[21:22], v11
	s_waitcnt lgkmcnt(0)
	v_lshrrev_b32_e32 v11, 16, v17
	v_mul_f64 v[19:20], v[19:20], s[14:15]
	s_waitcnt vmcnt(5)
	v_mul_f16_sdwa v3, v11, v10 dst_sel:DWORD dst_unused:UNUSED_PAD src0_sel:DWORD src1_sel:WORD_1
	v_mul_f64 v[21:22], v[21:22], s[14:15]
	v_fma_f16 v3, v17, v10, v3
	v_mul_f16_sdwa v17, v17, v10 dst_sel:DWORD dst_unused:UNUSED_PAD src0_sel:DWORD src1_sel:WORD_1
	v_fma_f16 v10, v10, v11, -v17
	v_cvt_f32_f16_e32 v10, v10
	v_and_or_b32 v16, v20, s18, v19
	v_cmp_ne_u32_e32 vcc, 0, v16
	v_and_or_b32 v21, v22, s18, v21
	v_lshrrev_b32_e32 v19, 8, v20
	v_bfe_u32 v23, v20, 20, 11
	v_cndmask_b32_e64 v16, 0, 1, vcc
	v_cmp_ne_u32_e32 vcc, 0, v21
	v_lshrrev_b32_e32 v25, 8, v22
	v_bfe_u32 v26, v22, 20, 11
	v_sub_u32_e32 v27, 0x3f1, v23
	v_cndmask_b32_e64 v21, 0, 1, vcc
	v_and_or_b32 v16, v19, s17, v16
	v_sub_u32_e32 v28, 0x3f1, v26
	v_med3_i32 v19, v27, 0, 13
	v_and_or_b32 v21, v25, s17, v21
	v_or_b32_e32 v27, 0x1000, v16
	v_add_u32_e32 v23, 0xfffffc10, v23
	v_med3_i32 v25, v28, 0, 13
	v_cmp_ne_u32_e32 vcc, 0, v16
	v_or_b32_e32 v29, 0x1000, v21
	v_lshrrev_b32_e32 v32, v19, v27
	v_add_u32_e32 v26, 0xfffffc10, v26
	v_lshl_or_b32 v28, v23, 12, v16
	v_cndmask_b32_e64 v16, 0, 1, vcc
	v_cmp_ne_u32_e32 vcc, 0, v21
	v_lshrrev_b32_e32 v33, v25, v29
	v_lshlrev_b32_e32 v19, v19, v32
	v_lshl_or_b32 v30, v26, 12, v21
	v_cndmask_b32_e64 v21, 0, 1, vcc
	v_lshlrev_b32_e32 v25, v25, v33
	v_cmp_ne_u32_e32 vcc, v19, v27
	v_cndmask_b32_e64 v19, 0, 1, vcc
	v_cmp_ne_u32_e32 vcc, v25, v29
	v_cndmask_b32_e64 v25, 0, 1, vcc
	v_or_b32_e32 v19, v32, v19
	v_cmp_gt_i32_e32 vcc, 1, v23
	v_cndmask_b32_e32 v19, v28, v19, vcc
	v_or_b32_e32 v25, v33, v25
	v_cmp_gt_i32_e32 vcc, 1, v26
	v_and_b32_e32 v27, 7, v19
	v_cndmask_b32_e32 v25, v30, v25, vcc
	v_cmp_lt_i32_e32 vcc, 5, v27
	v_cmp_eq_u32_e64 s[0:1], 3, v27
	v_lshrrev_b32_e32 v19, 2, v19
	v_and_b32_e32 v28, 7, v25
	s_or_b64 vcc, s[0:1], vcc
	v_cmp_lt_i32_e64 s[2:3], 5, v28
	v_cmp_eq_u32_e64 s[4:5], 3, v28
	v_addc_co_u32_e32 v19, vcc, 0, v19, vcc
	v_lshrrev_b32_e32 v25, 2, v25
	s_or_b64 vcc, s[4:5], s[2:3]
	v_addc_co_u32_e32 v25, vcc, 0, v25, vcc
	v_cmp_gt_i32_e32 vcc, 31, v23
	v_cndmask_b32_e32 v19, v4, v19, vcc
	v_cmp_gt_i32_e32 vcc, 31, v26
	v_lshl_or_b32 v16, v16, 9, v4
	v_cndmask_b32_e32 v25, v4, v25, vcc
	v_cmp_eq_u32_e32 vcc, s16, v23
	v_lshrrev_b32_e32 v20, 16, v20
	v_cndmask_b32_e32 v16, v19, v16, vcc
	v_and_or_b32 v16, v20, s10, v16
	v_cvt_f32_f16_e32 v20, v3
	v_lshl_or_b32 v21, v21, 9, v4
	v_cmp_eq_u32_e32 vcc, s16, v26
	v_lshrrev_b32_e32 v22, 16, v22
	v_cndmask_b32_e32 v19, v25, v21, vcc
	v_and_or_b32 v21, v22, s10, v19
	v_cvt_f64_f32_e32 v[19:20], v20
	v_and_b32_e32 v16, 0xffff, v16
	v_mov_b32_e32 v3, v24
	v_lshl_or_b32 v16, v21, 16, v16
	v_mul_f64 v[19:20], v[19:20], s[14:15]
	v_mov_b32_e32 v21, s13
	v_add_co_u32_e32 v22, vcc, s12, v0
	v_addc_co_u32_e32 v21, vcc, v21, v1, vcc
	v_lshlrev_b64 v[0:1], 2, v[2:3]
	s_mul_hi_u32 s2, s8, 0x210
	v_add_co_u32_e32 v0, vcc, v22, v0
	v_addc_co_u32_e32 v1, vcc, v21, v1, vcc
	v_and_or_b32 v2, v20, s18, v19
	v_cmp_ne_u32_e32 vcc, 0, v2
	v_cndmask_b32_e64 v2, 0, 1, vcc
	v_lshrrev_b32_e32 v3, 8, v20
	global_store_dword v[0:1], v16, off
	v_and_or_b32 v16, v3, s17, v2
	v_bfe_u32 v3, v20, 20, 11
	v_sub_u32_e32 v19, 0x3f1, v3
	v_or_b32_e32 v2, 0x1000, v16
	v_med3_i32 v19, v19, 0, 13
	v_lshrrev_b32_e32 v21, v19, v2
	v_lshlrev_b32_e32 v19, v19, v21
	v_cmp_ne_u32_e32 vcc, v19, v2
	v_cndmask_b32_e64 v2, 0, 1, vcc
	v_add_u32_e32 v19, 0xfffffc10, v3
	v_or_b32_e32 v2, v21, v2
	v_lshl_or_b32 v3, v19, 12, v16
	v_cmp_gt_i32_e32 vcc, 1, v19
	v_cndmask_b32_e32 v2, v3, v2, vcc
	v_and_b32_e32 v3, 7, v2
	v_cmp_lt_i32_e32 vcc, 5, v3
	v_cmp_eq_u32_e64 s[0:1], 3, v3
	v_lshrrev_b32_e32 v11, 2, v2
	v_cvt_f64_f32_e32 v[2:3], v10
	s_or_b64 vcc, s[0:1], vcc
	v_addc_co_u32_e32 v10, vcc, 0, v11, vcc
	v_mul_f64 v[2:3], v[2:3], s[14:15]
	v_cmp_gt_i32_e32 vcc, 31, v19
	v_cndmask_b32_e32 v10, v4, v10, vcc
	v_cmp_ne_u32_e32 vcc, 0, v16
	v_cndmask_b32_e64 v11, 0, 1, vcc
	v_lshl_or_b32 v11, v11, 9, v4
	v_cmp_eq_u32_e32 vcc, s16, v19
	v_cndmask_b32_e32 v10, v10, v11, vcc
	v_and_or_b32 v2, v3, s18, v2
	v_lshrrev_b32_e32 v11, 16, v20
	v_cmp_ne_u32_e32 vcc, 0, v2
	v_and_or_b32 v10, v11, s10, v10
	v_cndmask_b32_e64 v2, 0, 1, vcc
	v_lshrrev_b32_e32 v11, 8, v3
	v_bfe_u32 v16, v3, 20, 11
	v_and_or_b32 v2, v11, s17, v2
	v_sub_u32_e32 v17, 0x3f1, v16
	v_or_b32_e32 v11, 0x1000, v2
	v_med3_i32 v17, v17, 0, 13
	v_lshrrev_b32_e32 v19, v17, v11
	v_lshlrev_b32_e32 v17, v17, v19
	v_cmp_ne_u32_e32 vcc, v17, v11
	v_cndmask_b32_e64 v11, 0, 1, vcc
	v_add_u32_e32 v16, 0xfffffc10, v16
	v_or_b32_e32 v11, v19, v11
	v_lshl_or_b32 v17, v16, 12, v2
	v_cmp_gt_i32_e32 vcc, 1, v16
	v_cndmask_b32_e32 v11, v17, v11, vcc
	v_and_b32_e32 v17, 7, v11
	v_cmp_lt_i32_e32 vcc, 5, v17
	v_cmp_eq_u32_e64 s[0:1], 3, v17
	v_lshrrev_b32_e32 v11, 2, v11
	s_or_b64 vcc, s[0:1], vcc
	v_addc_co_u32_e32 v11, vcc, 0, v11, vcc
	v_cmp_gt_i32_e32 vcc, 31, v16
	v_cndmask_b32_e32 v11, v4, v11, vcc
	v_cmp_ne_u32_e32 vcc, 0, v2
	v_cndmask_b32_e64 v2, 0, 1, vcc
	v_lshl_or_b32 v2, v2, 9, v4
	v_cmp_eq_u32_e32 vcc, s16, v16
	v_cndmask_b32_e32 v2, v11, v2, vcc
	v_lshrrev_b32_e32 v11, 16, v18
	s_waitcnt vmcnt(5)
	v_mul_f16_sdwa v16, v11, v12 dst_sel:DWORD dst_unused:UNUSED_PAD src0_sel:DWORD src1_sel:WORD_1
	v_fma_f16 v16, v18, v12, v16
	v_cvt_f32_f16_e32 v16, v16
	v_lshrrev_b32_e32 v3, 16, v3
	v_and_or_b32 v2, v3, s10, v2
	v_and_b32_e32 v3, 0xffff, v10
	v_lshl_or_b32 v10, v2, 16, v3
	v_cvt_f64_f32_e32 v[2:3], v16
	s_mul_i32 s0, s9, 0x210
	s_add_i32 s2, s2, s0
	s_mul_i32 s3, s8, 0x210
	v_mul_f64 v[2:3], v[2:3], s[14:15]
	v_mov_b32_e32 v16, s2
	v_add_co_u32_e32 v0, vcc, s3, v0
	v_addc_co_u32_e32 v1, vcc, v1, v16, vcc
	global_store_dword v[0:1], v10, off
	v_mul_f16_sdwa v18, v18, v12 dst_sel:DWORD dst_unused:UNUSED_PAD src0_sel:DWORD src1_sel:WORD_1
	v_and_or_b32 v2, v3, s18, v2
	v_cmp_ne_u32_e32 vcc, 0, v2
	v_cndmask_b32_e64 v2, 0, 1, vcc
	v_lshrrev_b32_e32 v10, 8, v3
	v_bfe_u32 v16, v3, 20, 11
	v_and_or_b32 v2, v10, s17, v2
	v_sub_u32_e32 v17, 0x3f1, v16
	v_or_b32_e32 v10, 0x1000, v2
	v_med3_i32 v17, v17, 0, 13
	v_lshrrev_b32_e32 v19, v17, v10
	v_lshlrev_b32_e32 v17, v17, v19
	v_fma_f16 v11, v12, v11, -v18
	v_cmp_ne_u32_e32 vcc, v17, v10
	v_cvt_f32_f16_e32 v11, v11
	v_cndmask_b32_e64 v10, 0, 1, vcc
	v_add_u32_e32 v16, 0xfffffc10, v16
	v_or_b32_e32 v10, v19, v10
	v_lshl_or_b32 v17, v16, 12, v2
	v_cmp_gt_i32_e32 vcc, 1, v16
	v_cndmask_b32_e32 v10, v17, v10, vcc
	v_and_b32_e32 v17, 7, v10
	v_lshrrev_b32_e32 v12, 2, v10
	v_cvt_f64_f32_e32 v[10:11], v11
	v_cmp_lt_i32_e32 vcc, 5, v17
	v_cmp_eq_u32_e64 s[0:1], 3, v17
	s_or_b64 vcc, s[0:1], vcc
	v_mul_f64 v[10:11], v[10:11], s[14:15]
	v_addc_co_u32_e32 v12, vcc, 0, v12, vcc
	v_cmp_gt_i32_e32 vcc, 31, v16
	v_cndmask_b32_e32 v12, v4, v12, vcc
	v_cmp_ne_u32_e32 vcc, 0, v2
	v_cndmask_b32_e64 v2, 0, 1, vcc
	v_lshl_or_b32 v2, v2, 9, v4
	v_cmp_eq_u32_e32 vcc, s16, v16
	v_cndmask_b32_e32 v2, v12, v2, vcc
	v_lshrrev_b32_e32 v3, 16, v3
	v_and_or_b32 v12, v3, s10, v2
	v_and_or_b32 v2, v11, s18, v10
	v_cmp_ne_u32_e32 vcc, 0, v2
	v_cndmask_b32_e64 v2, 0, 1, vcc
	v_lshrrev_b32_e32 v3, 8, v11
	v_and_or_b32 v10, v3, s17, v2
	v_bfe_u32 v3, v11, 20, 11
	v_sub_u32_e32 v16, 0x3f1, v3
	v_or_b32_e32 v2, 0x1000, v10
	v_med3_i32 v16, v16, 0, 13
	v_lshrrev_b32_e32 v17, v16, v2
	v_lshlrev_b32_e32 v16, v16, v17
	v_cmp_ne_u32_e32 vcc, v16, v2
	v_cndmask_b32_e64 v2, 0, 1, vcc
	v_add_u32_e32 v16, 0xfffffc10, v3
	v_or_b32_e32 v2, v17, v2
	v_lshl_or_b32 v3, v16, 12, v10
	v_cmp_gt_i32_e32 vcc, 1, v16
	v_cndmask_b32_e32 v2, v3, v2, vcc
	v_and_b32_e32 v3, 7, v2
	v_cmp_lt_i32_e32 vcc, 5, v3
	v_cmp_eq_u32_e64 s[0:1], 3, v3
	v_lshrrev_b32_e32 v2, 2, v2
	s_or_b64 vcc, s[0:1], vcc
	v_addc_co_u32_e32 v17, vcc, 0, v2, vcc
	v_add_u32_e32 v2, 0x600, v31
	ds_read2_b32 v[2:3], v2 offset0:12 offset1:144
	v_cmp_gt_i32_e32 vcc, 31, v16
	v_cndmask_b32_e32 v17, v4, v17, vcc
	v_cmp_ne_u32_e32 vcc, 0, v10
	v_cndmask_b32_e64 v10, 0, 1, vcc
	s_waitcnt lgkmcnt(0)
	v_lshrrev_b32_e32 v18, 16, v2
	s_waitcnt vmcnt(5)
	v_mul_f16_sdwa v19, v18, v13 dst_sel:DWORD dst_unused:UNUSED_PAD src0_sel:DWORD src1_sel:WORD_1
	v_fma_f16 v19, v2, v13, v19
	v_cvt_f32_f16_e32 v19, v19
	v_lshl_or_b32 v10, v10, 9, v4
	v_cmp_eq_u32_e32 vcc, s16, v16
	v_cndmask_b32_e32 v10, v17, v10, vcc
	v_cvt_f64_f32_e32 v[16:17], v19
	v_lshrrev_b32_e32 v11, 16, v11
	v_and_or_b32 v19, v11, s10, v10
	v_add_co_u32_e32 v0, vcc, s3, v0
	v_mul_f64 v[10:11], v[16:17], s[14:15]
	v_mov_b32_e32 v16, s2
	v_and_b32_e32 v12, 0xffff, v12
	v_addc_co_u32_e32 v1, vcc, v1, v16, vcc
	v_lshl_or_b32 v12, v19, 16, v12
	global_store_dword v[0:1], v12, off
	v_mul_f16_sdwa v2, v2, v13 dst_sel:DWORD dst_unused:UNUSED_PAD src0_sel:DWORD src1_sel:WORD_1
	v_and_or_b32 v10, v11, s18, v10
	v_cmp_ne_u32_e32 vcc, 0, v10
	v_cndmask_b32_e64 v10, 0, 1, vcc
	v_lshrrev_b32_e32 v12, 8, v11
	v_bfe_u32 v16, v11, 20, 11
	v_and_or_b32 v10, v12, s17, v10
	v_sub_u32_e32 v17, 0x3f1, v16
	v_or_b32_e32 v12, 0x1000, v10
	v_med3_i32 v17, v17, 0, 13
	v_lshrrev_b32_e32 v19, v17, v12
	v_lshlrev_b32_e32 v17, v17, v19
	v_cmp_ne_u32_e32 vcc, v17, v12
	v_fma_f16 v2, v13, v18, -v2
	v_cndmask_b32_e64 v12, 0, 1, vcc
	v_add_u32_e32 v16, 0xfffffc10, v16
	v_cvt_f32_f16_e32 v2, v2
	v_or_b32_e32 v12, v19, v12
	v_lshl_or_b32 v17, v16, 12, v10
	v_cmp_gt_i32_e32 vcc, 1, v16
	v_cndmask_b32_e32 v12, v17, v12, vcc
	v_and_b32_e32 v17, 7, v12
	v_cmp_lt_i32_e32 vcc, 5, v17
	v_cmp_eq_u32_e64 s[0:1], 3, v17
	v_lshrrev_b32_e32 v17, 2, v12
	v_cvt_f64_f32_e32 v[12:13], v2
	s_or_b64 vcc, s[0:1], vcc
	v_addc_co_u32_e32 v2, vcc, 0, v17, vcc
	v_mul_f64 v[12:13], v[12:13], s[14:15]
	v_cmp_gt_i32_e32 vcc, 31, v16
	v_cndmask_b32_e32 v2, v4, v2, vcc
	v_cmp_ne_u32_e32 vcc, 0, v10
	v_cndmask_b32_e64 v10, 0, 1, vcc
	v_lshl_or_b32 v10, v10, 9, v4
	v_cmp_eq_u32_e32 vcc, s16, v16
	v_cndmask_b32_e32 v2, v2, v10, vcc
	v_lshrrev_b32_e32 v10, 16, v11
	v_and_or_b32 v2, v10, s10, v2
	v_and_or_b32 v10, v13, s18, v12
	v_cmp_ne_u32_e32 vcc, 0, v10
	v_cndmask_b32_e64 v10, 0, 1, vcc
	v_lshrrev_b32_e32 v11, 8, v13
	v_bfe_u32 v12, v13, 20, 11
	v_and_or_b32 v10, v11, s17, v10
	v_sub_u32_e32 v16, 0x3f1, v12
	v_or_b32_e32 v11, 0x1000, v10
	v_med3_i32 v16, v16, 0, 13
	v_lshrrev_b32_e32 v17, v16, v11
	v_lshlrev_b32_e32 v16, v16, v17
	v_cmp_ne_u32_e32 vcc, v16, v11
	v_cndmask_b32_e64 v11, 0, 1, vcc
	v_add_u32_e32 v12, 0xfffffc10, v12
	v_or_b32_e32 v11, v17, v11
	v_lshl_or_b32 v16, v12, 12, v10
	v_cmp_gt_i32_e32 vcc, 1, v12
	v_cndmask_b32_e32 v11, v16, v11, vcc
	v_and_b32_e32 v16, 7, v11
	v_cmp_lt_i32_e32 vcc, 5, v16
	v_cmp_eq_u32_e64 s[0:1], 3, v16
	v_lshrrev_b32_e32 v16, 16, v3
	v_lshrrev_b32_e32 v11, 2, v11
	s_or_b64 vcc, s[0:1], vcc
	s_waitcnt vmcnt(5)
	v_mul_f16_sdwa v17, v16, v14 dst_sel:DWORD dst_unused:UNUSED_PAD src0_sel:DWORD src1_sel:WORD_1
	v_addc_co_u32_e32 v11, vcc, 0, v11, vcc
	v_fma_f16 v17, v3, v14, v17
	v_cmp_gt_i32_e32 vcc, 31, v12
	v_cvt_f32_f16_e32 v17, v17
	v_cndmask_b32_e32 v11, v4, v11, vcc
	v_cmp_ne_u32_e32 vcc, 0, v10
	v_cndmask_b32_e64 v10, 0, 1, vcc
	v_lshl_or_b32 v10, v10, 9, v4
	v_cmp_eq_u32_e32 vcc, s16, v12
	v_cndmask_b32_e32 v12, v11, v10, vcc
	v_cvt_f64_f32_e32 v[10:11], v17
	v_lshrrev_b32_e32 v13, 16, v13
	v_and_or_b32 v12, v13, s10, v12
	v_and_b32_e32 v2, 0xffff, v2
	v_mul_f64 v[10:11], v[10:11], s[14:15]
	v_lshl_or_b32 v2, v12, 16, v2
	v_mov_b32_e32 v12, s2
	v_add_co_u32_e32 v0, vcc, s3, v0
	v_addc_co_u32_e32 v1, vcc, v1, v12, vcc
	global_store_dword v[0:1], v2, off
	v_and_or_b32 v2, v11, s18, v10
	v_cmp_ne_u32_e32 vcc, 0, v2
	v_cndmask_b32_e64 v2, 0, 1, vcc
	v_lshrrev_b32_e32 v10, 8, v11
	v_bfe_u32 v12, v11, 20, 11
	v_and_or_b32 v10, v10, s17, v2
	v_sub_u32_e32 v13, 0x3f1, v12
	v_or_b32_e32 v2, 0x1000, v10
	v_med3_i32 v13, v13, 0, 13
	v_lshrrev_b32_e32 v17, v13, v2
	v_lshlrev_b32_e32 v13, v13, v17
	v_mul_f16_sdwa v3, v3, v14 dst_sel:DWORD dst_unused:UNUSED_PAD src0_sel:DWORD src1_sel:WORD_1
	v_cmp_ne_u32_e32 vcc, v13, v2
	v_fma_f16 v3, v14, v16, -v3
	v_cndmask_b32_e64 v2, 0, 1, vcc
	v_add_u32_e32 v12, 0xfffffc10, v12
	v_cvt_f32_f16_e32 v3, v3
	v_or_b32_e32 v2, v17, v2
	v_lshl_or_b32 v13, v12, 12, v10
	v_cmp_gt_i32_e32 vcc, 1, v12
	v_cndmask_b32_e32 v2, v13, v2, vcc
	v_and_b32_e32 v13, 7, v2
	v_cmp_lt_i32_e32 vcc, 5, v13
	v_cmp_eq_u32_e64 s[0:1], 3, v13
	v_lshrrev_b32_e32 v13, 2, v2
	v_cvt_f64_f32_e32 v[2:3], v3
	s_or_b64 vcc, s[0:1], vcc
	v_addc_co_u32_e32 v13, vcc, 0, v13, vcc
	v_mul_f64 v[2:3], v[2:3], s[14:15]
	v_cmp_gt_i32_e32 vcc, 31, v12
	v_cndmask_b32_e32 v13, v4, v13, vcc
	v_cmp_ne_u32_e32 vcc, 0, v10
	v_cndmask_b32_e64 v10, 0, 1, vcc
	v_lshl_or_b32 v10, v10, 9, v4
	v_cmp_eq_u32_e32 vcc, s16, v12
	v_cndmask_b32_e32 v10, v13, v10, vcc
	v_and_or_b32 v2, v3, s18, v2
	v_lshrrev_b32_e32 v11, 16, v11
	v_cmp_ne_u32_e32 vcc, 0, v2
	v_and_or_b32 v14, v11, s10, v10
	v_cndmask_b32_e64 v2, 0, 1, vcc
	v_lshrrev_b32_e32 v10, 8, v3
	v_bfe_u32 v11, v3, 20, 11
	v_and_or_b32 v2, v10, s17, v2
	v_sub_u32_e32 v12, 0x3f1, v11
	v_or_b32_e32 v10, 0x1000, v2
	v_med3_i32 v12, v12, 0, 13
	v_lshrrev_b32_e32 v13, v12, v10
	v_lshlrev_b32_e32 v12, v12, v13
	v_cmp_ne_u32_e32 vcc, v12, v10
	v_cndmask_b32_e64 v10, 0, 1, vcc
	v_add_u32_e32 v12, 0xfffffc10, v11
	v_or_b32_e32 v10, v13, v10
	v_lshl_or_b32 v11, v12, 12, v2
	v_cmp_gt_i32_e32 vcc, 1, v12
	v_cndmask_b32_e32 v10, v11, v10, vcc
	v_and_b32_e32 v11, 7, v10
	v_cmp_lt_i32_e32 vcc, 5, v11
	v_cmp_eq_u32_e64 s[0:1], 3, v11
	v_lshrrev_b32_e32 v10, 2, v10
	s_or_b64 vcc, s[0:1], vcc
	v_addc_co_u32_e32 v13, vcc, 0, v10, vcc
	v_add_u32_e32 v10, 0xa00, v31
	ds_read2_b32 v[10:11], v10 offset0:20 offset1:152
	v_cmp_gt_i32_e32 vcc, 31, v12
	v_cndmask_b32_e32 v13, v4, v13, vcc
	v_cmp_ne_u32_e32 vcc, 0, v2
	v_cndmask_b32_e64 v2, 0, 1, vcc
	s_waitcnt lgkmcnt(0)
	v_lshrrev_b32_e32 v16, 16, v10
	s_waitcnt vmcnt(5)
	v_mul_f16_sdwa v17, v16, v15 dst_sel:DWORD dst_unused:UNUSED_PAD src0_sel:DWORD src1_sel:WORD_1
	v_fma_f16 v17, v10, v15, v17
	v_cvt_f32_f16_e32 v17, v17
	v_lshl_or_b32 v2, v2, 9, v4
	v_cmp_eq_u32_e32 vcc, s16, v12
	v_cndmask_b32_e32 v2, v13, v2, vcc
	v_cvt_f64_f32_e32 v[12:13], v17
	v_lshrrev_b32_e32 v3, 16, v3
	v_and_or_b32 v17, v3, s10, v2
	v_add_co_u32_e32 v0, vcc, s3, v0
	v_mul_f64 v[2:3], v[12:13], s[14:15]
	v_mov_b32_e32 v13, s2
	v_and_b32_e32 v14, 0xffff, v14
	v_addc_co_u32_e32 v1, vcc, v1, v13, vcc
	v_lshl_or_b32 v12, v17, 16, v14
	global_store_dword v[0:1], v12, off
	v_mul_f16_sdwa v10, v10, v15 dst_sel:DWORD dst_unused:UNUSED_PAD src0_sel:DWORD src1_sel:WORD_1
	v_and_or_b32 v2, v3, s18, v2
	v_cmp_ne_u32_e32 vcc, 0, v2
	v_cndmask_b32_e64 v2, 0, 1, vcc
	v_lshrrev_b32_e32 v12, 8, v3
	v_bfe_u32 v13, v3, 20, 11
	v_and_or_b32 v2, v12, s17, v2
	v_sub_u32_e32 v14, 0x3f1, v13
	v_or_b32_e32 v12, 0x1000, v2
	v_med3_i32 v14, v14, 0, 13
	v_lshrrev_b32_e32 v17, v14, v12
	v_lshlrev_b32_e32 v14, v14, v17
	v_cmp_ne_u32_e32 vcc, v14, v12
	v_fma_f16 v10, v15, v16, -v10
	v_cndmask_b32_e64 v12, 0, 1, vcc
	v_add_u32_e32 v14, 0xfffffc10, v13
	v_cvt_f32_f16_e32 v10, v10
	v_or_b32_e32 v12, v17, v12
	v_lshl_or_b32 v13, v14, 12, v2
	v_cmp_gt_i32_e32 vcc, 1, v14
	v_cndmask_b32_e32 v12, v13, v12, vcc
	v_and_b32_e32 v13, 7, v12
	v_cmp_lt_i32_e32 vcc, 5, v13
	v_cmp_eq_u32_e64 s[0:1], 3, v13
	v_lshrrev_b32_e32 v15, 2, v12
	v_cvt_f64_f32_e32 v[12:13], v10
	s_or_b64 vcc, s[0:1], vcc
	v_addc_co_u32_e32 v10, vcc, 0, v15, vcc
	v_mul_f64 v[12:13], v[12:13], s[14:15]
	v_cmp_gt_i32_e32 vcc, 31, v14
	v_cndmask_b32_e32 v10, v4, v10, vcc
	v_cmp_ne_u32_e32 vcc, 0, v2
	v_cndmask_b32_e64 v2, 0, 1, vcc
	v_lshl_or_b32 v2, v2, 9, v4
	v_cmp_eq_u32_e32 vcc, s16, v14
	v_cndmask_b32_e32 v2, v10, v2, vcc
	v_lshrrev_b32_e32 v3, 16, v3
	v_and_or_b32 v10, v3, s10, v2
	v_and_or_b32 v2, v13, s18, v12
	v_cmp_ne_u32_e32 vcc, 0, v2
	v_cndmask_b32_e64 v2, 0, 1, vcc
	v_lshrrev_b32_e32 v3, 8, v13
	v_bfe_u32 v12, v13, 20, 11
	v_and_or_b32 v2, v3, s17, v2
	v_sub_u32_e32 v14, 0x3f1, v12
	v_or_b32_e32 v3, 0x1000, v2
	v_med3_i32 v14, v14, 0, 13
	v_lshrrev_b32_e32 v15, v14, v3
	v_lshlrev_b32_e32 v14, v14, v15
	v_cmp_ne_u32_e32 vcc, v14, v3
	v_cndmask_b32_e64 v3, 0, 1, vcc
	v_add_u32_e32 v12, 0xfffffc10, v12
	v_or_b32_e32 v3, v15, v3
	v_lshl_or_b32 v14, v12, 12, v2
	v_cmp_gt_i32_e32 vcc, 1, v12
	v_cndmask_b32_e32 v3, v14, v3, vcc
	v_and_b32_e32 v14, 7, v3
	v_cmp_lt_i32_e32 vcc, 5, v14
	v_cmp_eq_u32_e64 s[0:1], 3, v14
	v_lshrrev_b32_e32 v14, 16, v11
	v_lshrrev_b32_e32 v3, 2, v3
	s_or_b64 vcc, s[0:1], vcc
	s_waitcnt vmcnt(5)
	v_mul_f16_sdwa v15, v14, v9 dst_sel:DWORD dst_unused:UNUSED_PAD src0_sel:DWORD src1_sel:WORD_1
	v_addc_co_u32_e32 v3, vcc, 0, v3, vcc
	v_fma_f16 v15, v11, v9, v15
	v_cmp_gt_i32_e32 vcc, 31, v12
	v_cvt_f32_f16_e32 v15, v15
	v_cndmask_b32_e32 v3, v4, v3, vcc
	v_cmp_ne_u32_e32 vcc, 0, v2
	v_cndmask_b32_e64 v2, 0, 1, vcc
	v_lshl_or_b32 v2, v2, 9, v4
	v_cmp_eq_u32_e32 vcc, s16, v12
	v_cndmask_b32_e32 v12, v3, v2, vcc
	v_cvt_f64_f32_e32 v[2:3], v15
	global_load_dword v15, v31, s[6:7] offset:3696
	v_lshrrev_b32_e32 v13, 16, v13
	v_and_or_b32 v12, v13, s10, v12
	v_mul_f64 v[2:3], v[2:3], s[14:15]
	v_and_b32_e32 v10, 0xffff, v10
	v_lshl_or_b32 v10, v12, 16, v10
	v_mov_b32_e32 v13, s2
	v_add_co_u32_e32 v12, vcc, s3, v0
	v_addc_co_u32_e32 v13, vcc, v1, v13, vcc
	v_and_or_b32 v0, v3, s18, v2
	v_cmp_ne_u32_e32 vcc, 0, v0
	v_cndmask_b32_e64 v0, 0, 1, vcc
	v_lshrrev_b32_e32 v1, 8, v3
	v_and_or_b32 v2, v1, s17, v0
	v_bfe_u32 v1, v3, 20, 11
	global_store_dword v[12:13], v10, off
	v_sub_u32_e32 v10, 0x3f1, v1
	v_or_b32_e32 v0, 0x1000, v2
	v_med3_i32 v10, v10, 0, 13
	v_lshrrev_b32_e32 v16, v10, v0
	v_lshlrev_b32_e32 v10, v10, v16
	v_mul_f16_sdwa v11, v11, v9 dst_sel:DWORD dst_unused:UNUSED_PAD src0_sel:DWORD src1_sel:WORD_1
	v_cmp_ne_u32_e32 vcc, v10, v0
	v_fma_f16 v9, v9, v14, -v11
	v_cndmask_b32_e64 v0, 0, 1, vcc
	v_add_u32_e32 v10, 0xfffffc10, v1
	v_cvt_f32_f16_e32 v9, v9
	v_or_b32_e32 v0, v16, v0
	v_lshl_or_b32 v1, v10, 12, v2
	v_cmp_gt_i32_e32 vcc, 1, v10
	v_cndmask_b32_e32 v0, v1, v0, vcc
	v_and_b32_e32 v1, 7, v0
	v_cmp_lt_i32_e32 vcc, 5, v1
	v_cmp_eq_u32_e64 s[0:1], 3, v1
	v_lshrrev_b32_e32 v11, 2, v0
	v_cvt_f64_f32_e32 v[0:1], v9
	s_or_b64 vcc, s[0:1], vcc
	v_addc_co_u32_e32 v9, vcc, 0, v11, vcc
	v_mul_f64 v[0:1], v[0:1], s[14:15]
	v_cmp_gt_i32_e32 vcc, 31, v10
	v_cndmask_b32_e32 v9, v4, v9, vcc
	v_cmp_ne_u32_e32 vcc, 0, v2
	v_cndmask_b32_e64 v2, 0, 1, vcc
	v_lshl_or_b32 v2, v2, 9, v4
	v_cmp_eq_u32_e32 vcc, s16, v10
	v_cndmask_b32_e32 v2, v9, v2, vcc
	v_and_or_b32 v0, v1, s18, v0
	v_lshrrev_b32_e32 v3, 16, v3
	v_cmp_ne_u32_e32 vcc, 0, v0
	v_and_or_b32 v11, v3, s10, v2
	v_cndmask_b32_e64 v0, 0, 1, vcc
	v_lshrrev_b32_e32 v2, 8, v1
	v_bfe_u32 v3, v1, 20, 11
	v_and_or_b32 v0, v2, s17, v0
	v_sub_u32_e32 v9, 0x3f1, v3
	v_or_b32_e32 v2, 0x1000, v0
	v_med3_i32 v9, v9, 0, 13
	v_lshrrev_b32_e32 v10, v9, v2
	v_lshlrev_b32_e32 v9, v9, v10
	v_cmp_ne_u32_e32 vcc, v9, v2
	v_cndmask_b32_e64 v2, 0, 1, vcc
	v_add_u32_e32 v9, 0xfffffc10, v3
	v_or_b32_e32 v2, v10, v2
	v_lshl_or_b32 v3, v9, 12, v0
	v_cmp_gt_i32_e32 vcc, 1, v9
	v_cndmask_b32_e32 v2, v3, v2, vcc
	v_and_b32_e32 v3, 7, v2
	v_cmp_lt_i32_e32 vcc, 5, v3
	v_cmp_eq_u32_e64 s[0:1], 3, v3
	v_lshrrev_b32_e32 v2, 2, v2
	s_or_b64 vcc, s[0:1], vcc
	v_addc_co_u32_e32 v10, vcc, 0, v2, vcc
	v_cmp_gt_i32_e32 vcc, 31, v9
	ds_read2_b32 v[2:3], v6 offset0:28 offset1:160
	v_cndmask_b32_e32 v6, v4, v10, vcc
	v_cmp_ne_u32_e32 vcc, 0, v0
	v_cndmask_b32_e64 v0, 0, 1, vcc
	v_lshl_or_b32 v0, v0, 9, v4
	v_cmp_eq_u32_e32 vcc, s16, v9
	v_cndmask_b32_e32 v0, v6, v0, vcc
	v_lshrrev_b32_e32 v1, 16, v1
	v_and_or_b32 v6, v1, s10, v0
	v_add_co_u32_e32 v0, vcc, s19, v7
	v_addc_co_u32_e32 v1, vcc, 0, v8, vcc
	global_load_dword v16, v[0:1], off offset:128
	s_waitcnt lgkmcnt(0)
	v_lshrrev_b32_e32 v14, 16, v2
	s_waitcnt vmcnt(2)
	v_mul_f16_sdwa v10, v14, v15 dst_sel:DWORD dst_unused:UNUSED_PAD src0_sel:DWORD src1_sel:WORD_1
	v_fma_f16 v10, v2, v15, v10
	v_cvt_f32_f16_e32 v10, v10
	v_and_b32_e32 v11, 0xffff, v11
	v_lshl_or_b32 v8, v6, 16, v11
	v_mov_b32_e32 v7, s2
	v_cvt_f64_f32_e32 v[9:10], v10
	v_add_co_u32_e32 v6, vcc, s3, v12
	v_addc_co_u32_e32 v7, vcc, v13, v7, vcc
	v_mul_f64 v[9:10], v[9:10], s[14:15]
	global_store_dword v[6:7], v8, off
	v_mul_f16_sdwa v2, v2, v15 dst_sel:DWORD dst_unused:UNUSED_PAD src0_sel:DWORD src1_sel:WORD_1
	v_fma_f16 v2, v15, v14, -v2
	v_cvt_f32_f16_e32 v2, v2
	v_and_or_b32 v8, v10, s18, v9
	v_cmp_ne_u32_e32 vcc, 0, v8
	v_cndmask_b32_e64 v8, 0, 1, vcc
	v_lshrrev_b32_e32 v9, 8, v10
	v_and_or_b32 v11, v9, s17, v8
	v_bfe_u32 v9, v10, 20, 11
	v_sub_u32_e32 v12, 0x3f1, v9
	v_or_b32_e32 v8, 0x1000, v11
	v_med3_i32 v12, v12, 0, 13
	v_lshrrev_b32_e32 v13, v12, v8
	v_lshlrev_b32_e32 v12, v12, v13
	v_cmp_ne_u32_e32 vcc, v12, v8
	v_cndmask_b32_e64 v8, 0, 1, vcc
	v_add_u32_e32 v12, 0xfffffc10, v9
	v_or_b32_e32 v8, v13, v8
	v_lshl_or_b32 v9, v12, 12, v11
	v_cmp_gt_i32_e32 vcc, 1, v12
	v_cndmask_b32_e32 v8, v9, v8, vcc
	v_and_b32_e32 v9, 7, v8
	v_cmp_lt_i32_e32 vcc, 5, v9
	v_cmp_eq_u32_e64 s[0:1], 3, v9
	v_lshrrev_b32_e32 v13, 2, v8
	v_cvt_f64_f32_e32 v[8:9], v2
	s_or_b64 vcc, s[0:1], vcc
	v_addc_co_u32_e32 v2, vcc, 0, v13, vcc
	v_mul_f64 v[8:9], v[8:9], s[14:15]
	v_cmp_gt_i32_e32 vcc, 31, v12
	v_cndmask_b32_e32 v2, v4, v2, vcc
	v_cmp_ne_u32_e32 vcc, 0, v11
	v_cndmask_b32_e64 v11, 0, 1, vcc
	v_lshl_or_b32 v11, v11, 9, v4
	v_cmp_eq_u32_e32 vcc, s16, v12
	v_cndmask_b32_e32 v2, v2, v11, vcc
	v_and_or_b32 v8, v9, s18, v8
	v_lshrrev_b32_e32 v10, 16, v10
	v_cmp_ne_u32_e32 vcc, 0, v8
	v_and_or_b32 v2, v10, s10, v2
	v_cndmask_b32_e64 v8, 0, 1, vcc
	v_lshrrev_b32_e32 v10, 8, v9
	v_bfe_u32 v11, v9, 20, 11
	v_and_or_b32 v8, v10, s17, v8
	v_sub_u32_e32 v12, 0x3f1, v11
	v_or_b32_e32 v10, 0x1000, v8
	v_med3_i32 v12, v12, 0, 13
	v_lshrrev_b32_e32 v13, v12, v10
	v_lshlrev_b32_e32 v12, v12, v13
	v_cmp_ne_u32_e32 vcc, v12, v10
	v_cndmask_b32_e64 v10, 0, 1, vcc
	v_or_b32_e32 v10, v13, v10
	global_load_dword v13, v[0:1], off offset:656
	global_load_dword v14, v[0:1], off offset:1184
	;; [unrolled: 1-line block ×3, first 2 shown]
	v_add_u32_e32 v11, 0xfffffc10, v11
	v_lshl_or_b32 v12, v11, 12, v8
	v_cmp_gt_i32_e32 vcc, 1, v11
	v_cndmask_b32_e32 v10, v12, v10, vcc
	v_and_b32_e32 v12, 7, v10
	v_cmp_lt_i32_e32 vcc, 5, v12
	v_cmp_eq_u32_e64 s[0:1], 3, v12
	v_lshrrev_b32_e32 v12, 16, v3
	v_lshrrev_b32_e32 v10, 2, v10
	s_or_b64 vcc, s[0:1], vcc
	s_waitcnt vmcnt(4)
	v_mul_f16_sdwa v17, v12, v16 dst_sel:DWORD dst_unused:UNUSED_PAD src0_sel:DWORD src1_sel:WORD_1
	v_addc_co_u32_e32 v10, vcc, 0, v10, vcc
	v_fma_f16 v17, v3, v16, v17
	v_cmp_gt_i32_e32 vcc, 31, v11
	v_cvt_f32_f16_e32 v17, v17
	v_cndmask_b32_e32 v10, v4, v10, vcc
	v_cmp_ne_u32_e32 vcc, 0, v8
	v_cndmask_b32_e64 v8, 0, 1, vcc
	v_lshl_or_b32 v8, v8, 9, v4
	v_cmp_eq_u32_e32 vcc, s16, v11
	v_cndmask_b32_e32 v8, v10, v8, vcc
	v_cvt_f64_f32_e32 v[10:11], v17
	v_lshrrev_b32_e32 v9, 16, v9
	v_and_or_b32 v17, v9, s10, v8
	v_and_b32_e32 v2, 0xffff, v2
	v_mul_f64 v[8:9], v[10:11], s[14:15]
	v_mov_b32_e32 v10, s2
	v_add_co_u32_e32 v6, vcc, s3, v6
	v_lshl_or_b32 v2, v17, 16, v2
	v_addc_co_u32_e32 v7, vcc, v7, v10, vcc
	global_store_dword v[6:7], v2, off
	v_and_or_b32 v2, v9, s18, v8
	v_cmp_ne_u32_e32 vcc, 0, v2
	v_cndmask_b32_e64 v2, 0, 1, vcc
	v_lshrrev_b32_e32 v8, 8, v9
	v_bfe_u32 v10, v9, 20, 11
	v_and_or_b32 v8, v8, s17, v2
	v_sub_u32_e32 v11, 0x3f1, v10
	v_or_b32_e32 v2, 0x1000, v8
	v_med3_i32 v11, v11, 0, 13
	v_lshrrev_b32_e32 v17, v11, v2
	v_lshlrev_b32_e32 v11, v11, v17
	v_mul_f16_sdwa v3, v3, v16 dst_sel:DWORD dst_unused:UNUSED_PAD src0_sel:DWORD src1_sel:WORD_1
	v_cmp_ne_u32_e32 vcc, v11, v2
	v_fma_f16 v3, v16, v12, -v3
	v_cndmask_b32_e64 v2, 0, 1, vcc
	v_add_u32_e32 v10, 0xfffffc10, v10
	v_cvt_f32_f16_e32 v3, v3
	v_or_b32_e32 v2, v17, v2
	v_lshl_or_b32 v11, v10, 12, v8
	v_cmp_gt_i32_e32 vcc, 1, v10
	v_cndmask_b32_e32 v2, v11, v2, vcc
	v_and_b32_e32 v11, 7, v2
	v_cmp_lt_i32_e32 vcc, 5, v11
	v_cmp_eq_u32_e64 s[0:1], 3, v11
	v_lshrrev_b32_e32 v11, 2, v2
	v_cvt_f64_f32_e32 v[2:3], v3
	s_or_b64 vcc, s[0:1], vcc
	v_addc_co_u32_e32 v11, vcc, 0, v11, vcc
	v_mul_f64 v[2:3], v[2:3], s[14:15]
	v_cmp_gt_i32_e32 vcc, 31, v10
	v_cndmask_b32_e32 v11, v4, v11, vcc
	v_cmp_ne_u32_e32 vcc, 0, v8
	v_cndmask_b32_e64 v8, 0, 1, vcc
	v_lshl_or_b32 v8, v8, 9, v4
	v_cmp_eq_u32_e32 vcc, s16, v10
	v_cndmask_b32_e32 v8, v11, v8, vcc
	v_and_or_b32 v2, v3, s18, v2
	v_lshrrev_b32_e32 v9, 16, v9
	v_cmp_ne_u32_e32 vcc, 0, v2
	v_and_or_b32 v12, v9, s10, v8
	v_cndmask_b32_e64 v2, 0, 1, vcc
	v_lshrrev_b32_e32 v8, 8, v3
	v_bfe_u32 v9, v3, 20, 11
	v_and_or_b32 v2, v8, s17, v2
	v_sub_u32_e32 v10, 0x3f1, v9
	v_or_b32_e32 v8, 0x1000, v2
	v_med3_i32 v10, v10, 0, 13
	v_lshrrev_b32_e32 v11, v10, v8
	v_lshlrev_b32_e32 v10, v10, v11
	v_cmp_ne_u32_e32 vcc, v10, v8
	v_cndmask_b32_e64 v8, 0, 1, vcc
	v_add_u32_e32 v10, 0xfffffc10, v9
	v_or_b32_e32 v8, v11, v8
	v_lshl_or_b32 v9, v10, 12, v2
	v_cmp_gt_i32_e32 vcc, 1, v10
	v_cndmask_b32_e32 v8, v9, v8, vcc
	v_and_b32_e32 v9, 7, v8
	v_cmp_lt_i32_e32 vcc, 5, v9
	v_cmp_eq_u32_e64 s[0:1], 3, v9
	v_lshrrev_b32_e32 v8, 2, v8
	s_or_b64 vcc, s[0:1], vcc
	v_addc_co_u32_e32 v11, vcc, 0, v8, vcc
	ds_read2_b32 v[8:9], v5 offset0:36 offset1:168
	v_cmp_gt_i32_e32 vcc, 31, v10
	v_cndmask_b32_e32 v5, v4, v11, vcc
	v_cmp_ne_u32_e32 vcc, 0, v2
	v_cndmask_b32_e64 v2, 0, 1, vcc
	s_waitcnt lgkmcnt(0)
	v_lshrrev_b32_e32 v16, 16, v8
	s_waitcnt vmcnt(3)
	v_mul_f16_sdwa v11, v16, v13 dst_sel:DWORD dst_unused:UNUSED_PAD src0_sel:DWORD src1_sel:WORD_1
	v_fma_f16 v11, v8, v13, v11
	v_cvt_f32_f16_e32 v11, v11
	v_cmp_eq_u32_e32 vcc, s16, v10
	v_lshl_or_b32 v2, v2, 9, v4
	v_cndmask_b32_e32 v2, v5, v2, vcc
	v_cvt_f64_f32_e32 v[10:11], v11
	v_lshrrev_b32_e32 v3, 16, v3
	v_and_or_b32 v5, v3, s10, v2
	v_and_b32_e32 v12, 0xffff, v12
	v_mul_f64 v[2:3], v[10:11], s[14:15]
	v_lshl_or_b32 v10, v5, 16, v12
	v_mov_b32_e32 v11, s2
	v_add_co_u32_e32 v5, vcc, s3, v6
	v_addc_co_u32_e32 v6, vcc, v7, v11, vcc
	global_store_dword v[5:6], v10, off
	v_and_or_b32 v2, v3, s18, v2
	v_cmp_ne_u32_e32 vcc, 0, v2
	v_cndmask_b32_e64 v2, 0, 1, vcc
	v_lshrrev_b32_e32 v7, 8, v3
	v_bfe_u32 v10, v3, 20, 11
	v_and_or_b32 v2, v7, s17, v2
	v_sub_u32_e32 v11, 0x3f1, v10
	v_or_b32_e32 v7, 0x1000, v2
	v_med3_i32 v11, v11, 0, 13
	v_lshrrev_b32_e32 v12, v11, v7
	v_lshlrev_b32_e32 v11, v11, v12
	v_mul_f16_sdwa v8, v8, v13 dst_sel:DWORD dst_unused:UNUSED_PAD src0_sel:DWORD src1_sel:WORD_1
	v_cmp_ne_u32_e32 vcc, v11, v7
	v_fma_f16 v8, v13, v16, -v8
	v_cndmask_b32_e64 v7, 0, 1, vcc
	v_add_u32_e32 v10, 0xfffffc10, v10
	v_cvt_f32_f16_e32 v8, v8
	v_or_b32_e32 v7, v12, v7
	v_lshl_or_b32 v11, v10, 12, v2
	v_cmp_gt_i32_e32 vcc, 1, v10
	v_cndmask_b32_e32 v7, v11, v7, vcc
	v_and_b32_e32 v11, 7, v7
	v_cmp_lt_i32_e32 vcc, 5, v11
	v_cmp_eq_u32_e64 s[0:1], 3, v11
	v_lshrrev_b32_e32 v11, 2, v7
	v_cvt_f64_f32_e32 v[7:8], v8
	s_or_b64 vcc, s[0:1], vcc
	v_addc_co_u32_e32 v11, vcc, 0, v11, vcc
	v_mul_f64 v[7:8], v[7:8], s[14:15]
	v_cmp_gt_i32_e32 vcc, 31, v10
	v_cndmask_b32_e32 v11, v4, v11, vcc
	v_cmp_ne_u32_e32 vcc, 0, v2
	v_cndmask_b32_e64 v2, 0, 1, vcc
	v_lshl_or_b32 v2, v2, 9, v4
	v_cmp_eq_u32_e32 vcc, s16, v10
	v_cndmask_b32_e32 v2, v11, v2, vcc
	v_lshrrev_b32_e32 v3, 16, v3
	v_and_or_b32 v10, v3, s10, v2
	v_and_or_b32 v2, v8, s18, v7
	v_cmp_ne_u32_e32 vcc, 0, v2
	v_cndmask_b32_e64 v2, 0, 1, vcc
	v_lshrrev_b32_e32 v3, 8, v8
	v_bfe_u32 v7, v8, 20, 11
	v_and_or_b32 v2, v3, s17, v2
	v_sub_u32_e32 v11, 0x3f1, v7
	v_or_b32_e32 v3, 0x1000, v2
	v_med3_i32 v11, v11, 0, 13
	v_lshrrev_b32_e32 v12, v11, v3
	v_lshlrev_b32_e32 v11, v11, v12
	v_cmp_ne_u32_e32 vcc, v11, v3
	v_cndmask_b32_e64 v3, 0, 1, vcc
	v_add_u32_e32 v7, 0xfffffc10, v7
	v_or_b32_e32 v3, v12, v3
	v_lshl_or_b32 v11, v7, 12, v2
	v_cmp_gt_i32_e32 vcc, 1, v7
	v_cndmask_b32_e32 v3, v11, v3, vcc
	v_and_b32_e32 v11, 7, v3
	v_cmp_lt_i32_e32 vcc, 5, v11
	v_cmp_eq_u32_e64 s[0:1], 3, v11
	v_lshrrev_b32_e32 v11, 16, v9
	v_lshrrev_b32_e32 v3, 2, v3
	s_or_b64 vcc, s[0:1], vcc
	s_waitcnt vmcnt(3)
	v_mul_f16_sdwa v12, v11, v14 dst_sel:DWORD dst_unused:UNUSED_PAD src0_sel:DWORD src1_sel:WORD_1
	v_addc_co_u32_e32 v3, vcc, 0, v3, vcc
	v_fma_f16 v12, v9, v14, v12
	v_cmp_gt_i32_e32 vcc, 31, v7
	v_cvt_f32_f16_e32 v12, v12
	v_cndmask_b32_e32 v3, v4, v3, vcc
	v_cmp_ne_u32_e32 vcc, 0, v2
	v_cndmask_b32_e64 v2, 0, 1, vcc
	v_lshl_or_b32 v2, v2, 9, v4
	v_cmp_eq_u32_e32 vcc, s16, v7
	v_cndmask_b32_e32 v7, v3, v2, vcc
	v_cvt_f64_f32_e32 v[2:3], v12
	v_lshrrev_b32_e32 v8, 16, v8
	v_and_or_b32 v7, v8, s10, v7
	v_and_b32_e32 v8, 0xffff, v10
	v_mul_f64 v[2:3], v[2:3], s[14:15]
	v_lshl_or_b32 v7, v7, 16, v8
	v_mov_b32_e32 v8, s2
	v_add_co_u32_e32 v5, vcc, s3, v5
	v_addc_co_u32_e32 v6, vcc, v6, v8, vcc
	global_store_dword v[5:6], v7, off
	v_and_or_b32 v2, v3, s18, v2
	v_cmp_ne_u32_e32 vcc, 0, v2
	v_cndmask_b32_e64 v2, 0, 1, vcc
	v_lshrrev_b32_e32 v7, 8, v3
	v_bfe_u32 v8, v3, 20, 11
	v_and_or_b32 v2, v7, s17, v2
	v_sub_u32_e32 v10, 0x3f1, v8
	v_or_b32_e32 v7, 0x1000, v2
	v_med3_i32 v10, v10, 0, 13
	v_lshrrev_b32_e32 v12, v10, v7
	v_lshlrev_b32_e32 v10, v10, v12
	v_mul_f16_sdwa v9, v9, v14 dst_sel:DWORD dst_unused:UNUSED_PAD src0_sel:DWORD src1_sel:WORD_1
	v_cmp_ne_u32_e32 vcc, v10, v7
	v_fma_f16 v9, v14, v11, -v9
	v_cndmask_b32_e64 v7, 0, 1, vcc
	v_add_u32_e32 v10, 0xfffffc10, v8
	v_cvt_f32_f16_e32 v9, v9
	v_or_b32_e32 v7, v12, v7
	v_lshl_or_b32 v8, v10, 12, v2
	v_cmp_gt_i32_e32 vcc, 1, v10
	v_cndmask_b32_e32 v7, v8, v7, vcc
	v_and_b32_e32 v8, 7, v7
	v_cmp_lt_i32_e32 vcc, 5, v8
	v_cmp_eq_u32_e64 s[0:1], 3, v8
	v_lshrrev_b32_e32 v11, 2, v7
	v_cvt_f64_f32_e32 v[7:8], v9
	s_or_b64 vcc, s[0:1], vcc
	v_addc_co_u32_e32 v9, vcc, 0, v11, vcc
	v_mul_f64 v[7:8], v[7:8], s[14:15]
	v_cmp_gt_i32_e32 vcc, 31, v10
	v_cndmask_b32_e32 v9, v4, v9, vcc
	v_cmp_ne_u32_e32 vcc, 0, v2
	v_cndmask_b32_e64 v2, 0, 1, vcc
	v_lshl_or_b32 v2, v2, 9, v4
	v_cmp_eq_u32_e32 vcc, s16, v10
	v_cndmask_b32_e32 v2, v9, v2, vcc
	v_lshrrev_b32_e32 v3, 16, v3
	v_and_or_b32 v11, v3, s10, v2
	v_and_or_b32 v2, v8, s18, v7
	v_cmp_ne_u32_e32 vcc, 0, v2
	v_cndmask_b32_e64 v2, 0, 1, vcc
	v_lshrrev_b32_e32 v3, 8, v8
	v_and_or_b32 v7, v3, s17, v2
	v_bfe_u32 v3, v8, 20, 11
	v_sub_u32_e32 v9, 0x3f1, v3
	v_or_b32_e32 v2, 0x1000, v7
	v_med3_i32 v9, v9, 0, 13
	v_lshrrev_b32_e32 v10, v9, v2
	v_lshlrev_b32_e32 v9, v9, v10
	v_cmp_ne_u32_e32 vcc, v9, v2
	v_cndmask_b32_e64 v2, 0, 1, vcc
	v_add_u32_e32 v9, 0xfffffc10, v3
	v_or_b32_e32 v2, v10, v2
	v_lshl_or_b32 v3, v9, 12, v7
	v_cmp_gt_i32_e32 vcc, 1, v9
	v_cndmask_b32_e32 v2, v3, v2, vcc
	v_and_b32_e32 v3, 7, v2
	v_cmp_lt_i32_e32 vcc, 5, v3
	v_cmp_eq_u32_e64 s[0:1], 3, v3
	v_lshrrev_b32_e32 v2, 2, v2
	s_or_b64 vcc, s[0:1], vcc
	v_addc_co_u32_e32 v10, vcc, 0, v2, vcc
	v_add_u32_e32 v2, 0x1600, v31
	ds_read2_b32 v[2:3], v2 offset0:44 offset1:176
	v_cmp_gt_i32_e32 vcc, 31, v9
	v_cndmask_b32_e32 v10, v4, v10, vcc
	v_cmp_ne_u32_e32 vcc, 0, v7
	v_cndmask_b32_e64 v7, 0, 1, vcc
	s_waitcnt lgkmcnt(0)
	v_lshrrev_b32_e32 v12, 16, v2
	s_waitcnt vmcnt(3)
	v_mul_f16_sdwa v13, v12, v15 dst_sel:DWORD dst_unused:UNUSED_PAD src0_sel:DWORD src1_sel:WORD_1
	v_fma_f16 v13, v2, v15, v13
	v_cvt_f32_f16_e32 v13, v13
	v_lshl_or_b32 v7, v7, 9, v4
	v_cmp_eq_u32_e32 vcc, s16, v9
	v_cndmask_b32_e32 v7, v10, v7, vcc
	v_cvt_f64_f32_e32 v[9:10], v13
	v_lshrrev_b32_e32 v8, 16, v8
	v_and_or_b32 v13, v8, s10, v7
	v_add_co_u32_e32 v5, vcc, s3, v5
	v_mul_f64 v[7:8], v[9:10], s[14:15]
	v_mov_b32_e32 v10, s2
	v_and_b32_e32 v11, 0xffff, v11
	v_addc_co_u32_e32 v6, vcc, v6, v10, vcc
	v_lshl_or_b32 v9, v13, 16, v11
	global_store_dword v[5:6], v9, off
	v_mul_f16_sdwa v2, v2, v15 dst_sel:DWORD dst_unused:UNUSED_PAD src0_sel:DWORD src1_sel:WORD_1
	v_and_or_b32 v7, v8, s18, v7
	v_cmp_ne_u32_e32 vcc, 0, v7
	v_cndmask_b32_e64 v7, 0, 1, vcc
	v_lshrrev_b32_e32 v9, 8, v8
	v_bfe_u32 v10, v8, 20, 11
	v_and_or_b32 v7, v9, s17, v7
	v_sub_u32_e32 v11, 0x3f1, v10
	v_or_b32_e32 v9, 0x1000, v7
	v_med3_i32 v11, v11, 0, 13
	v_lshrrev_b32_e32 v13, v11, v9
	v_lshlrev_b32_e32 v11, v11, v13
	v_cmp_ne_u32_e32 vcc, v11, v9
	v_fma_f16 v2, v15, v12, -v2
	v_cndmask_b32_e64 v9, 0, 1, vcc
	v_add_u32_e32 v11, 0xfffffc10, v10
	v_cvt_f32_f16_e32 v2, v2
	v_or_b32_e32 v9, v13, v9
	v_lshl_or_b32 v10, v11, 12, v7
	v_cmp_gt_i32_e32 vcc, 1, v11
	v_cndmask_b32_e32 v9, v10, v9, vcc
	v_and_b32_e32 v10, 7, v9
	v_cmp_lt_i32_e32 vcc, 5, v10
	v_cmp_eq_u32_e64 s[0:1], 3, v10
	v_lshrrev_b32_e32 v12, 2, v9
	v_cvt_f64_f32_e32 v[9:10], v2
	s_or_b64 vcc, s[0:1], vcc
	v_addc_co_u32_e32 v2, vcc, 0, v12, vcc
	v_mul_f64 v[9:10], v[9:10], s[14:15]
	v_cmp_gt_i32_e32 vcc, 31, v11
	v_cndmask_b32_e32 v2, v4, v2, vcc
	v_cmp_ne_u32_e32 vcc, 0, v7
	v_cndmask_b32_e64 v7, 0, 1, vcc
	v_lshl_or_b32 v7, v7, 9, v4
	v_cmp_eq_u32_e32 vcc, s16, v11
	v_cndmask_b32_e32 v2, v2, v7, vcc
	v_lshrrev_b32_e32 v7, 16, v8
	v_and_or_b32 v2, v7, s10, v2
	v_and_or_b32 v7, v10, s18, v9
	v_cmp_ne_u32_e32 vcc, 0, v7
	v_cndmask_b32_e64 v7, 0, 1, vcc
	v_lshrrev_b32_e32 v8, 8, v10
	v_bfe_u32 v9, v10, 20, 11
	v_and_or_b32 v7, v8, s17, v7
	v_sub_u32_e32 v11, 0x3f1, v9
	v_or_b32_e32 v8, 0x1000, v7
	v_med3_i32 v11, v11, 0, 13
	v_lshrrev_b32_e32 v12, v11, v8
	v_lshlrev_b32_e32 v11, v11, v12
	v_cmp_ne_u32_e32 vcc, v11, v8
	v_cndmask_b32_e64 v8, 0, 1, vcc
	v_add_u32_e32 v9, 0xfffffc10, v9
	v_or_b32_e32 v8, v12, v8
	v_lshl_or_b32 v11, v9, 12, v7
	v_cmp_gt_i32_e32 vcc, 1, v9
	v_cndmask_b32_e32 v8, v11, v8, vcc
	v_and_b32_e32 v11, 7, v8
	v_cmp_lt_i32_e32 vcc, 5, v11
	v_cmp_eq_u32_e64 s[0:1], 3, v11
	v_lshrrev_b32_e32 v8, 2, v8
	s_or_b64 vcc, s[0:1], vcc
	v_addc_co_u32_e32 v8, vcc, 0, v8, vcc
	v_cmp_gt_i32_e32 vcc, 31, v9
	v_cndmask_b32_e32 v8, v4, v8, vcc
	v_cmp_ne_u32_e32 vcc, 0, v7
	v_cndmask_b32_e64 v7, 0, 1, vcc
	v_lshl_or_b32 v7, v7, 9, v4
	v_cmp_eq_u32_e32 vcc, s16, v9
	v_cndmask_b32_e32 v7, v8, v7, vcc
	v_lshrrev_b32_e32 v8, 16, v10
	v_and_or_b32 v7, v8, s10, v7
	v_and_b32_e32 v2, 0xffff, v2
	v_lshl_or_b32 v2, v7, 16, v2
	v_mov_b32_e32 v7, s2
	v_add_co_u32_e32 v5, vcc, s3, v5
	v_addc_co_u32_e32 v6, vcc, v6, v7, vcc
	global_store_dword v[5:6], v2, off
	global_load_dword v2, v[0:1], off offset:2240
	v_lshrrev_b32_e32 v7, 16, v3
	s_waitcnt vmcnt(0)
	v_mul_f16_sdwa v0, v7, v2 dst_sel:DWORD dst_unused:UNUSED_PAD src0_sel:DWORD src1_sel:WORD_1
	v_fma_f16 v0, v3, v2, v0
	v_cvt_f32_f16_e32 v0, v0
	v_mul_f16_sdwa v3, v3, v2 dst_sel:DWORD dst_unused:UNUSED_PAD src0_sel:DWORD src1_sel:WORD_1
	v_fma_f16 v2, v2, v7, -v3
	v_cvt_f32_f16_e32 v2, v2
	v_cvt_f64_f32_e32 v[0:1], v0
	v_cvt_f64_f32_e32 v[2:3], v2
	v_mul_f64 v[0:1], v[0:1], s[14:15]
	v_mul_f64 v[2:3], v[2:3], s[14:15]
	v_and_or_b32 v0, v1, s18, v0
	v_cmp_ne_u32_e32 vcc, 0, v0
	v_cndmask_b32_e64 v0, 0, 1, vcc
	v_lshrrev_b32_e32 v8, 8, v1
	v_bfe_u32 v9, v1, 20, 11
	v_and_or_b32 v0, v8, s17, v0
	v_sub_u32_e32 v10, 0x3f1, v9
	v_or_b32_e32 v8, 0x1000, v0
	v_med3_i32 v10, v10, 0, 13
	v_lshrrev_b32_e32 v11, v10, v8
	v_lshlrev_b32_e32 v10, v10, v11
	v_cmp_ne_u32_e32 vcc, v10, v8
	v_cndmask_b32_e64 v8, 0, 1, vcc
	v_add_u32_e32 v9, 0xfffffc10, v9
	v_or_b32_e32 v8, v11, v8
	v_lshl_or_b32 v10, v9, 12, v0
	v_cmp_gt_i32_e32 vcc, 1, v9
	v_cndmask_b32_e32 v8, v10, v8, vcc
	v_and_b32_e32 v10, 7, v8
	v_cmp_lt_i32_e32 vcc, 5, v10
	v_cmp_eq_u32_e64 s[0:1], 3, v10
	v_lshrrev_b32_e32 v7, 2, v8
	s_or_b64 vcc, s[0:1], vcc
	v_addc_co_u32_e32 v7, vcc, 0, v7, vcc
	v_cmp_gt_i32_e32 vcc, 31, v9
	v_cndmask_b32_e32 v7, v4, v7, vcc
	v_cmp_ne_u32_e32 vcc, 0, v0
	v_cndmask_b32_e64 v0, 0, 1, vcc
	v_lshl_or_b32 v0, v0, 9, v4
	v_cmp_eq_u32_e32 vcc, s16, v9
	v_cndmask_b32_e32 v0, v7, v0, vcc
	v_lshrrev_b32_e32 v1, 16, v1
	v_and_or_b32 v0, v1, s10, v0
	v_and_or_b32 v1, v3, s18, v2
	v_cmp_ne_u32_e32 vcc, 0, v1
	v_cndmask_b32_e64 v1, 0, 1, vcc
	v_lshrrev_b32_e32 v2, 8, v3
	v_bfe_u32 v7, v3, 20, 11
	v_and_or_b32 v1, v2, s17, v1
	v_sub_u32_e32 v8, 0x3f1, v7
	v_or_b32_e32 v2, 0x1000, v1
	v_med3_i32 v8, v8, 0, 13
	v_lshrrev_b32_e32 v9, v8, v2
	v_lshlrev_b32_e32 v8, v8, v9
	v_cmp_ne_u32_e32 vcc, v8, v2
	v_cndmask_b32_e64 v2, 0, 1, vcc
	v_add_u32_e32 v7, 0xfffffc10, v7
	v_or_b32_e32 v2, v9, v2
	v_lshl_or_b32 v8, v7, 12, v1
	v_cmp_gt_i32_e32 vcc, 1, v7
	v_cndmask_b32_e32 v2, v8, v2, vcc
	v_and_b32_e32 v8, 7, v2
	v_cmp_lt_i32_e32 vcc, 5, v8
	v_cmp_eq_u32_e64 s[0:1], 3, v8
	v_lshrrev_b32_e32 v2, 2, v2
	s_or_b64 vcc, s[0:1], vcc
	v_addc_co_u32_e32 v2, vcc, 0, v2, vcc
	v_cmp_gt_i32_e32 vcc, 31, v7
	v_cndmask_b32_e32 v2, v4, v2, vcc
	v_cmp_ne_u32_e32 vcc, 0, v1
	v_cndmask_b32_e64 v1, 0, 1, vcc
	v_lshl_or_b32 v1, v1, 9, v4
	v_cmp_eq_u32_e32 vcc, s16, v7
	v_cndmask_b32_e32 v1, v2, v1, vcc
	v_lshrrev_b32_e32 v2, 16, v3
	v_and_or_b32 v1, v2, s10, v1
	v_and_b32_e32 v0, 0xffff, v0
	v_lshl_or_b32 v2, v1, 16, v0
	v_mov_b32_e32 v1, s2
	v_add_co_u32_e32 v0, vcc, s3, v5
	v_addc_co_u32_e32 v1, vcc, v6, v1, vcc
	global_store_dword v[0:1], v2, off
.LBB0_31:
	s_endpgm
	.section	.rodata,"a",@progbits
	.p2align	6, 0x0
	.amdhsa_kernel bluestein_single_back_len1716_dim1_half_op_CI_CI
		.amdhsa_group_segment_fixed_size 6864
		.amdhsa_private_segment_fixed_size 0
		.amdhsa_kernarg_size 104
		.amdhsa_user_sgpr_count 6
		.amdhsa_user_sgpr_private_segment_buffer 1
		.amdhsa_user_sgpr_dispatch_ptr 0
		.amdhsa_user_sgpr_queue_ptr 0
		.amdhsa_user_sgpr_kernarg_segment_ptr 1
		.amdhsa_user_sgpr_dispatch_id 0
		.amdhsa_user_sgpr_flat_scratch_init 0
		.amdhsa_user_sgpr_private_segment_size 0
		.amdhsa_uses_dynamic_stack 0
		.amdhsa_system_sgpr_private_segment_wavefront_offset 0
		.amdhsa_system_sgpr_workgroup_id_x 1
		.amdhsa_system_sgpr_workgroup_id_y 0
		.amdhsa_system_sgpr_workgroup_id_z 0
		.amdhsa_system_sgpr_workgroup_info 0
		.amdhsa_system_vgpr_workitem_id 0
		.amdhsa_next_free_vgpr 161
		.amdhsa_next_free_sgpr 34
		.amdhsa_reserve_vcc 1
		.amdhsa_reserve_flat_scratch 0
		.amdhsa_float_round_mode_32 0
		.amdhsa_float_round_mode_16_64 0
		.amdhsa_float_denorm_mode_32 3
		.amdhsa_float_denorm_mode_16_64 3
		.amdhsa_dx10_clamp 1
		.amdhsa_ieee_mode 1
		.amdhsa_fp16_overflow 0
		.amdhsa_exception_fp_ieee_invalid_op 0
		.amdhsa_exception_fp_denorm_src 0
		.amdhsa_exception_fp_ieee_div_zero 0
		.amdhsa_exception_fp_ieee_overflow 0
		.amdhsa_exception_fp_ieee_underflow 0
		.amdhsa_exception_fp_ieee_inexact 0
		.amdhsa_exception_int_div_zero 0
	.end_amdhsa_kernel
	.text
.Lfunc_end0:
	.size	bluestein_single_back_len1716_dim1_half_op_CI_CI, .Lfunc_end0-bluestein_single_back_len1716_dim1_half_op_CI_CI
                                        ; -- End function
	.section	.AMDGPU.csdata,"",@progbits
; Kernel info:
; codeLenInByte = 24440
; NumSgprs: 38
; NumVgprs: 161
; ScratchSize: 0
; MemoryBound: 0
; FloatMode: 240
; IeeeMode: 1
; LDSByteSize: 6864 bytes/workgroup (compile time only)
; SGPRBlocks: 4
; VGPRBlocks: 40
; NumSGPRsForWavesPerEU: 38
; NumVGPRsForWavesPerEU: 161
; Occupancy: 1
; WaveLimiterHint : 1
; COMPUTE_PGM_RSRC2:SCRATCH_EN: 0
; COMPUTE_PGM_RSRC2:USER_SGPR: 6
; COMPUTE_PGM_RSRC2:TRAP_HANDLER: 0
; COMPUTE_PGM_RSRC2:TGID_X_EN: 1
; COMPUTE_PGM_RSRC2:TGID_Y_EN: 0
; COMPUTE_PGM_RSRC2:TGID_Z_EN: 0
; COMPUTE_PGM_RSRC2:TIDIG_COMP_CNT: 0
	.type	__hip_cuid_c2bb9bd1a79c367a,@object ; @__hip_cuid_c2bb9bd1a79c367a
	.section	.bss,"aw",@nobits
	.globl	__hip_cuid_c2bb9bd1a79c367a
__hip_cuid_c2bb9bd1a79c367a:
	.byte	0                               ; 0x0
	.size	__hip_cuid_c2bb9bd1a79c367a, 1

	.ident	"AMD clang version 19.0.0git (https://github.com/RadeonOpenCompute/llvm-project roc-6.4.0 25133 c7fe45cf4b819c5991fe208aaa96edf142730f1d)"
	.section	".note.GNU-stack","",@progbits
	.addrsig
	.addrsig_sym __hip_cuid_c2bb9bd1a79c367a
	.amdgpu_metadata
---
amdhsa.kernels:
  - .args:
      - .actual_access:  read_only
        .address_space:  global
        .offset:         0
        .size:           8
        .value_kind:     global_buffer
      - .actual_access:  read_only
        .address_space:  global
        .offset:         8
        .size:           8
        .value_kind:     global_buffer
      - .actual_access:  read_only
        .address_space:  global
        .offset:         16
        .size:           8
        .value_kind:     global_buffer
      - .actual_access:  read_only
        .address_space:  global
        .offset:         24
        .size:           8
        .value_kind:     global_buffer
      - .actual_access:  read_only
        .address_space:  global
        .offset:         32
        .size:           8
        .value_kind:     global_buffer
      - .offset:         40
        .size:           8
        .value_kind:     by_value
      - .address_space:  global
        .offset:         48
        .size:           8
        .value_kind:     global_buffer
      - .address_space:  global
        .offset:         56
        .size:           8
        .value_kind:     global_buffer
      - .address_space:  global
        .offset:         64
        .size:           8
        .value_kind:     global_buffer
      - .address_space:  global
        .offset:         72
        .size:           8
        .value_kind:     global_buffer
      - .offset:         80
        .size:           4
        .value_kind:     by_value
      - .address_space:  global
        .offset:         88
        .size:           8
        .value_kind:     global_buffer
      - .address_space:  global
        .offset:         96
        .size:           8
        .value_kind:     global_buffer
    .group_segment_fixed_size: 6864
    .kernarg_segment_align: 8
    .kernarg_segment_size: 104
    .language:       OpenCL C
    .language_version:
      - 2
      - 0
    .max_flat_workgroup_size: 156
    .name:           bluestein_single_back_len1716_dim1_half_op_CI_CI
    .private_segment_fixed_size: 0
    .sgpr_count:     38
    .sgpr_spill_count: 0
    .symbol:         bluestein_single_back_len1716_dim1_half_op_CI_CI.kd
    .uniform_work_group_size: 1
    .uses_dynamic_stack: false
    .vgpr_count:     161
    .vgpr_spill_count: 0
    .wavefront_size: 64
amdhsa.target:   amdgcn-amd-amdhsa--gfx906
amdhsa.version:
  - 1
  - 2
...

	.end_amdgpu_metadata
